;; amdgpu-corpus repo=ROCm/rocFFT kind=compiled arch=gfx906 opt=O3
	.text
	.amdgcn_target "amdgcn-amd-amdhsa--gfx906"
	.amdhsa_code_object_version 6
	.protected	fft_rtc_fwd_len578_factors_17_17_2_wgs_238_tpt_34_halfLds_sp_op_CI_CI_unitstride_sbrr_dirReg ; -- Begin function fft_rtc_fwd_len578_factors_17_17_2_wgs_238_tpt_34_halfLds_sp_op_CI_CI_unitstride_sbrr_dirReg
	.globl	fft_rtc_fwd_len578_factors_17_17_2_wgs_238_tpt_34_halfLds_sp_op_CI_CI_unitstride_sbrr_dirReg
	.p2align	8
	.type	fft_rtc_fwd_len578_factors_17_17_2_wgs_238_tpt_34_halfLds_sp_op_CI_CI_unitstride_sbrr_dirReg,@function
fft_rtc_fwd_len578_factors_17_17_2_wgs_238_tpt_34_halfLds_sp_op_CI_CI_unitstride_sbrr_dirReg: ; @fft_rtc_fwd_len578_factors_17_17_2_wgs_238_tpt_34_halfLds_sp_op_CI_CI_unitstride_sbrr_dirReg
; %bb.0:
	v_mul_u32_u24_e32 v1, 0x788, v0
	s_load_dwordx4 s[12:15], s[4:5], 0x58
	s_load_dwordx4 s[8:11], s[4:5], 0x0
	;; [unrolled: 1-line block ×3, first 2 shown]
	v_lshrrev_b32_e32 v1, 16, v1
	v_mad_u64_u32 v[31:32], s[0:1], s6, 7, v[1:2]
	v_mov_b32_e32 v3, 0
	s_waitcnt lgkmcnt(0)
	v_cmp_lt_u64_e64 s[0:1], s[10:11], 2
	v_mov_b32_e32 v36, 0
	v_mov_b32_e32 v32, v3
	;; [unrolled: 1-line block ×5, first 2 shown]
	s_and_b64 vcc, exec, s[0:1]
	v_mov_b32_e32 v2, v37
	v_mov_b32_e32 v6, v32
	s_cbranch_vccnz .LBB0_8
; %bb.1:
	s_load_dwordx2 s[0:1], s[4:5], 0x10
	s_add_u32 s2, s18, 8
	s_addc_u32 s3, s19, 0
	s_add_u32 s6, s16, 8
	s_addc_u32 s7, s17, 0
	v_mov_b32_e32 v36, 0
	s_waitcnt lgkmcnt(0)
	s_add_u32 s20, s0, 8
	v_mov_b32_e32 v37, 0
	v_mov_b32_e32 v1, v36
	;; [unrolled: 1-line block ×3, first 2 shown]
	s_addc_u32 s21, s1, 0
	s_mov_b64 s[22:23], 1
	v_mov_b32_e32 v2, v37
	v_mov_b32_e32 v8, v32
.LBB0_2:                                ; =>This Inner Loop Header: Depth=1
	s_load_dwordx2 s[24:25], s[20:21], 0x0
                                        ; implicit-def: $vgpr5_vgpr6
	s_waitcnt lgkmcnt(0)
	v_or_b32_e32 v4, s25, v8
	v_cmp_ne_u64_e32 vcc, 0, v[3:4]
	s_and_saveexec_b64 s[0:1], vcc
	s_xor_b64 s[26:27], exec, s[0:1]
	s_cbranch_execz .LBB0_4
; %bb.3:                                ;   in Loop: Header=BB0_2 Depth=1
	v_cvt_f32_u32_e32 v4, s24
	v_cvt_f32_u32_e32 v5, s25
	s_sub_u32 s0, 0, s24
	s_subb_u32 s1, 0, s25
	v_mac_f32_e32 v4, 0x4f800000, v5
	v_rcp_f32_e32 v4, v4
	v_mul_f32_e32 v4, 0x5f7ffffc, v4
	v_mul_f32_e32 v5, 0x2f800000, v4
	v_trunc_f32_e32 v5, v5
	v_mac_f32_e32 v4, 0xcf800000, v5
	v_cvt_u32_f32_e32 v5, v5
	v_cvt_u32_f32_e32 v4, v4
	v_mul_lo_u32 v6, s0, v5
	v_mul_hi_u32 v9, s0, v4
	v_mul_lo_u32 v11, s1, v4
	v_mul_lo_u32 v10, s0, v4
	v_add_u32_e32 v6, v9, v6
	v_add_u32_e32 v6, v6, v11
	v_mul_hi_u32 v9, v4, v10
	v_mul_lo_u32 v11, v4, v6
	v_mul_hi_u32 v13, v4, v6
	v_mul_hi_u32 v12, v5, v10
	v_mul_lo_u32 v10, v5, v10
	v_mul_hi_u32 v14, v5, v6
	v_add_co_u32_e32 v9, vcc, v9, v11
	v_addc_co_u32_e32 v11, vcc, 0, v13, vcc
	v_mul_lo_u32 v6, v5, v6
	v_add_co_u32_e32 v9, vcc, v9, v10
	v_addc_co_u32_e32 v9, vcc, v11, v12, vcc
	v_addc_co_u32_e32 v10, vcc, 0, v14, vcc
	v_add_co_u32_e32 v6, vcc, v9, v6
	v_addc_co_u32_e32 v9, vcc, 0, v10, vcc
	v_add_co_u32_e32 v4, vcc, v4, v6
	v_addc_co_u32_e32 v5, vcc, v5, v9, vcc
	v_mul_lo_u32 v6, s0, v5
	v_mul_hi_u32 v9, s0, v4
	v_mul_lo_u32 v10, s1, v4
	v_mul_lo_u32 v11, s0, v4
	v_add_u32_e32 v6, v9, v6
	v_add_u32_e32 v6, v6, v10
	v_mul_lo_u32 v12, v4, v6
	v_mul_hi_u32 v13, v4, v11
	v_mul_hi_u32 v14, v4, v6
	;; [unrolled: 1-line block ×3, first 2 shown]
	v_mul_lo_u32 v11, v5, v11
	v_mul_hi_u32 v9, v5, v6
	v_add_co_u32_e32 v12, vcc, v13, v12
	v_addc_co_u32_e32 v13, vcc, 0, v14, vcc
	v_mul_lo_u32 v6, v5, v6
	v_add_co_u32_e32 v11, vcc, v12, v11
	v_addc_co_u32_e32 v10, vcc, v13, v10, vcc
	v_addc_co_u32_e32 v9, vcc, 0, v9, vcc
	v_add_co_u32_e32 v6, vcc, v10, v6
	v_addc_co_u32_e32 v9, vcc, 0, v9, vcc
	v_add_co_u32_e32 v6, vcc, v4, v6
	v_addc_co_u32_e32 v9, vcc, v5, v9, vcc
	v_mad_u64_u32 v[4:5], s[0:1], v7, v9, 0
	v_mul_hi_u32 v10, v7, v6
	v_add_co_u32_e32 v11, vcc, v10, v4
	v_addc_co_u32_e32 v12, vcc, 0, v5, vcc
	v_mad_u64_u32 v[4:5], s[0:1], v8, v6, 0
	v_mad_u64_u32 v[9:10], s[0:1], v8, v9, 0
	v_add_co_u32_e32 v4, vcc, v11, v4
	v_addc_co_u32_e32 v4, vcc, v12, v5, vcc
	v_addc_co_u32_e32 v5, vcc, 0, v10, vcc
	v_add_co_u32_e32 v9, vcc, v4, v9
	v_addc_co_u32_e32 v6, vcc, 0, v5, vcc
	v_mul_lo_u32 v10, s25, v9
	v_mul_lo_u32 v11, s24, v6
	v_mad_u64_u32 v[4:5], s[0:1], s24, v9, 0
	v_add3_u32 v5, v5, v11, v10
	v_sub_u32_e32 v10, v8, v5
	v_mov_b32_e32 v11, s25
	v_sub_co_u32_e32 v4, vcc, v7, v4
	v_subb_co_u32_e64 v10, s[0:1], v10, v11, vcc
	v_subrev_co_u32_e64 v11, s[0:1], s24, v4
	v_subbrev_co_u32_e64 v10, s[0:1], 0, v10, s[0:1]
	v_cmp_le_u32_e64 s[0:1], s25, v10
	v_cndmask_b32_e64 v12, 0, -1, s[0:1]
	v_cmp_le_u32_e64 s[0:1], s24, v11
	v_cndmask_b32_e64 v11, 0, -1, s[0:1]
	v_cmp_eq_u32_e64 s[0:1], s25, v10
	v_cndmask_b32_e64 v10, v12, v11, s[0:1]
	v_add_co_u32_e64 v11, s[0:1], 2, v9
	v_addc_co_u32_e64 v12, s[0:1], 0, v6, s[0:1]
	v_add_co_u32_e64 v13, s[0:1], 1, v9
	v_addc_co_u32_e64 v14, s[0:1], 0, v6, s[0:1]
	v_subb_co_u32_e32 v5, vcc, v8, v5, vcc
	v_cmp_ne_u32_e64 s[0:1], 0, v10
	v_cmp_le_u32_e32 vcc, s25, v5
	v_cndmask_b32_e64 v10, v14, v12, s[0:1]
	v_cndmask_b32_e64 v12, 0, -1, vcc
	v_cmp_le_u32_e32 vcc, s24, v4
	v_cndmask_b32_e64 v4, 0, -1, vcc
	v_cmp_eq_u32_e32 vcc, s25, v5
	v_cndmask_b32_e32 v4, v12, v4, vcc
	v_cmp_ne_u32_e32 vcc, 0, v4
	v_cndmask_b32_e64 v4, v13, v11, s[0:1]
	v_cndmask_b32_e32 v6, v6, v10, vcc
	v_cndmask_b32_e32 v5, v9, v4, vcc
.LBB0_4:                                ;   in Loop: Header=BB0_2 Depth=1
	s_andn2_saveexec_b64 s[0:1], s[26:27]
	s_cbranch_execz .LBB0_6
; %bb.5:                                ;   in Loop: Header=BB0_2 Depth=1
	v_cvt_f32_u32_e32 v4, s24
	s_sub_i32 s26, 0, s24
	v_rcp_iflag_f32_e32 v4, v4
	v_mul_f32_e32 v4, 0x4f7ffffe, v4
	v_cvt_u32_f32_e32 v4, v4
	v_mul_lo_u32 v5, s26, v4
	v_mul_hi_u32 v5, v4, v5
	v_add_u32_e32 v4, v4, v5
	v_mul_hi_u32 v4, v7, v4
	v_mul_lo_u32 v5, v4, s24
	v_add_u32_e32 v6, 1, v4
	v_sub_u32_e32 v5, v7, v5
	v_subrev_u32_e32 v9, s24, v5
	v_cmp_le_u32_e32 vcc, s24, v5
	v_cndmask_b32_e32 v5, v5, v9, vcc
	v_cndmask_b32_e32 v4, v4, v6, vcc
	v_add_u32_e32 v6, 1, v4
	v_cmp_le_u32_e32 vcc, s24, v5
	v_cndmask_b32_e32 v5, v4, v6, vcc
	v_mov_b32_e32 v6, v3
.LBB0_6:                                ;   in Loop: Header=BB0_2 Depth=1
	s_or_b64 exec, exec, s[0:1]
	v_mul_lo_u32 v4, v6, s24
	v_mul_lo_u32 v11, v5, s25
	v_mad_u64_u32 v[9:10], s[0:1], v5, s24, 0
	s_load_dwordx2 s[0:1], s[6:7], 0x0
	s_load_dwordx2 s[24:25], s[2:3], 0x0
	v_add3_u32 v4, v10, v11, v4
	v_sub_co_u32_e32 v7, vcc, v7, v9
	v_subb_co_u32_e32 v4, vcc, v8, v4, vcc
	s_waitcnt lgkmcnt(0)
	v_mul_lo_u32 v8, s0, v4
	v_mul_lo_u32 v9, s1, v7
	v_mad_u64_u32 v[36:37], s[0:1], s0, v7, v[36:37]
	s_add_u32 s22, s22, 1
	s_addc_u32 s23, s23, 0
	s_add_u32 s2, s2, 8
	v_mul_lo_u32 v4, s24, v4
	v_mul_lo_u32 v10, s25, v7
	v_mad_u64_u32 v[1:2], s[0:1], s24, v7, v[1:2]
	v_add3_u32 v37, v9, v37, v8
	s_addc_u32 s3, s3, 0
	v_mov_b32_e32 v7, s10
	s_add_u32 s6, s6, 8
	v_mov_b32_e32 v8, s11
	s_addc_u32 s7, s7, 0
	v_cmp_ge_u64_e32 vcc, s[22:23], v[7:8]
	s_add_u32 s20, s20, 8
	v_add3_u32 v2, v10, v2, v4
	s_addc_u32 s21, s21, 0
	s_cbranch_vccnz .LBB0_8
; %bb.7:                                ;   in Loop: Header=BB0_2 Depth=1
	v_mov_b32_e32 v8, v6
	v_mov_b32_e32 v7, v5
	s_branch .LBB0_2
.LBB0_8:
	s_load_dwordx2 s[4:5], s[4:5], 0x28
	s_lshl_b64 s[6:7], s[10:11], 3
	s_add_u32 s2, s18, s6
	s_addc_u32 s3, s19, s7
                                        ; implicit-def: $sgpr10_sgpr11
                                        ; implicit-def: $vgpr3
	s_waitcnt lgkmcnt(0)
	v_cmp_gt_u64_e64 s[0:1], s[4:5], v[5:6]
	v_cmp_le_u64_e32 vcc, s[4:5], v[5:6]
	s_and_saveexec_b64 s[4:5], vcc
	s_xor_b64 s[4:5], exec, s[4:5]
; %bb.9:
	s_mov_b32 s10, 0x7878788
	v_mul_hi_u32 v3, v0, s10
	s_mov_b64 s[10:11], 0
                                        ; implicit-def: $vgpr36_vgpr37
	v_mul_u32_u24_e32 v3, 34, v3
	v_sub_u32_e32 v3, v0, v3
                                        ; implicit-def: $vgpr0
; %bb.10:
	s_or_saveexec_b64 s[4:5], s[4:5]
	v_mov_b32_e32 v39, s11
	v_mov_b32_e32 v38, s10
                                        ; implicit-def: $vgpr41
                                        ; implicit-def: $vgpr33
                                        ; implicit-def: $vgpr28
                                        ; implicit-def: $vgpr24
                                        ; implicit-def: $vgpr20
                                        ; implicit-def: $vgpr16
                                        ; implicit-def: $vgpr12
                                        ; implicit-def: $vgpr8
                                        ; implicit-def: $vgpr14
                                        ; implicit-def: $vgpr44
                                        ; implicit-def: $vgpr22
                                        ; implicit-def: $vgpr30
                                        ; implicit-def: $vgpr43
                                        ; implicit-def: $vgpr35
                                        ; implicit-def: $vgpr26
                                        ; implicit-def: $vgpr18
                                        ; implicit-def: $vgpr10
	s_xor_b64 exec, exec, s[4:5]
	s_cbranch_execz .LBB0_12
; %bb.11:
	s_add_u32 s6, s16, s6
	s_addc_u32 s7, s17, s7
	s_load_dwordx2 s[6:7], s[6:7], 0x0
	s_mov_b32 s10, 0x7878788
	v_mul_hi_u32 v3, v0, s10
	s_waitcnt lgkmcnt(0)
	v_mul_lo_u32 v4, s7, v5
	v_mul_lo_u32 v9, s6, v6
	v_mad_u64_u32 v[7:8], s[6:7], s6, v5, 0
	v_mul_u32_u24_e32 v3, 34, v3
	v_sub_u32_e32 v3, v0, v3
	v_add3_u32 v8, v8, v9, v4
	v_lshlrev_b64 v[7:8], 3, v[7:8]
	v_mov_b32_e32 v0, s13
	v_add_co_u32_e32 v4, vcc, s12, v7
	v_addc_co_u32_e32 v0, vcc, v0, v8, vcc
	v_lshlrev_b64 v[7:8], 3, v[36:37]
	v_add_co_u32_e32 v4, vcc, v4, v7
	v_addc_co_u32_e32 v0, vcc, v0, v8, vcc
	v_lshlrev_b32_e32 v7, 3, v3
	v_add_co_u32_e32 v36, vcc, v4, v7
	v_addc_co_u32_e32 v37, vcc, 0, v0, vcc
	v_add_co_u32_e32 v44, vcc, 0x1000, v36
	global_load_dwordx2 v[38:39], v[36:37], off
	global_load_dwordx2 v[40:41], v[36:37], off offset:272
	global_load_dwordx2 v[32:33], v[36:37], off offset:544
	global_load_dwordx2 v[27:28], v[36:37], off offset:816
	global_load_dwordx2 v[23:24], v[36:37], off offset:1088
	global_load_dwordx2 v[19:20], v[36:37], off offset:1360
	global_load_dwordx2 v[15:16], v[36:37], off offset:1632
	global_load_dwordx2 v[11:12], v[36:37], off offset:1904
	v_addc_co_u32_e32 v45, vcc, 0, v37, vcc
	global_load_dwordx2 v[7:8], v[36:37], off offset:2176
	global_load_dwordx2 v[9:10], v[36:37], off offset:2448
	;; [unrolled: 1-line block ×9, first 2 shown]
	v_mov_b32_e32 v44, v3
.LBB0_12:
	s_or_b64 exec, exec, s[4:5]
	s_mov_b32 s4, 0x24924925
	v_mul_hi_u32 v0, v31, s4
	s_waitcnt vmcnt(15)
	v_add_f32_e32 v4, v40, v38
	v_add_f32_e32 v36, v41, v39
	s_waitcnt vmcnt(14)
	v_add_f32_e32 v4, v32, v4
	v_sub_u32_e32 v37, v31, v0
	v_lshrrev_b32_e32 v37, 1, v37
	v_add_u32_e32 v0, v37, v0
	v_lshrrev_b32_e32 v0, 2, v0
	v_mul_lo_u32 v0, v0, 7
	v_add_f32_e32 v36, v33, v36
	s_waitcnt vmcnt(13)
	v_add_f32_e32 v37, v27, v4
	s_mov_b32 s6, 0x3f6eb680
	v_sub_u32_e32 v0, v31, v0
	v_mul_u32_u24_e32 v4, 0x242, v0
	v_add_f32_e32 v0, v28, v36
	s_waitcnt vmcnt(12)
	v_add_f32_e32 v31, v23, v37
	v_add_f32_e32 v0, v24, v0
	s_waitcnt vmcnt(11)
	v_add_f32_e32 v31, v19, v31
	;; [unrolled: 3-line block ×12, first 2 shown]
	s_waitcnt vmcnt(0)
	v_add_f32_e32 v36, v40, v42
	v_add_f32_e32 v0, v35, v0
	;; [unrolled: 1-line block ×3, first 2 shown]
	v_sub_f32_e32 v40, v40, v42
	v_mul_f32_e32 v42, 0x3f6eb680, v36
	v_mul_f32_e32 v47, 0x3f3d2fb0, v36
	;; [unrolled: 1-line block ×8, first 2 shown]
	v_add_f32_e32 v0, v43, v0
	v_add_f32_e32 v37, v41, v43
	v_sub_f32_e32 v41, v41, v43
	v_mov_b32_e32 v43, v42
	v_mul_f32_e32 v45, 0xbeb8f4ab, v40
	v_mov_b32_e32 v48, v47
	v_mul_f32_e32 v49, 0xbf2c7751, v40
	;; [unrolled: 2-line block ×8, first 2 shown]
	v_fmac_f32_e32 v43, 0x3eb8f4ab, v41
	v_mov_b32_e32 v46, v45
	v_fmac_f32_e32 v42, 0xbeb8f4ab, v41
	s_mov_b32 s7, 0x3f3d2fb0
	v_fmac_f32_e32 v48, 0x3f2c7751, v41
	v_mov_b32_e32 v50, v49
	v_fmac_f32_e32 v47, 0xbf2c7751, v41
	s_mov_b32 s10, 0x3ee437d1
	;; [unrolled: 4-line block ×7, first 2 shown]
	v_fmac_f32_e32 v71, 0x3e3c28d5, v41
	v_mov_b32_e32 v72, v40
	v_fmac_f32_e32 v36, 0xbe3c28d5, v41
	v_add_f32_e32 v43, v43, v38
	v_fmac_f32_e32 v46, 0x3f6eb680, v37
	v_add_f32_e32 v42, v42, v38
	v_fma_f32 v45, v37, s6, -v45
	v_add_f32_e32 v48, v48, v38
	v_fmac_f32_e32 v50, 0x3f3d2fb0, v37
	v_add_f32_e32 v47, v47, v38
	v_fma_f32 v49, v37, s7, -v49
	;; [unrolled: 4-line block ×8, first 2 shown]
	v_add_f32_e32 v38, v32, v34
	v_add_f32_e32 v46, v46, v39
	;; [unrolled: 1-line block ×18, first 2 shown]
	v_sub_f32_e32 v32, v32, v34
	v_sub_f32_e32 v33, v33, v35
	v_mul_f32_e32 v34, 0x3f3d2fb0, v38
	v_mov_b32_e32 v35, v34
	v_fmac_f32_e32 v34, 0xbf2c7751, v33
	v_fmac_f32_e32 v35, 0x3f2c7751, v33
	v_add_f32_e32 v34, v34, v42
	v_mul_f32_e32 v42, 0x3dbcf732, v38
	v_add_f32_e32 v35, v35, v43
	v_mul_f32_e32 v40, 0xbf2c7751, v32
	v_mov_b32_e32 v43, v42
	v_fmac_f32_e32 v42, 0xbf7ee86f, v33
	v_mov_b32_e32 v41, v40
	v_fma_f32 v40, v39, s7, -v40
	v_fmac_f32_e32 v43, 0x3f7ee86f, v33
	v_add_f32_e32 v42, v42, v47
	v_mul_f32_e32 v47, 0xbf1a4643, v38
	v_fmac_f32_e32 v41, 0x3f3d2fb0, v39
	v_add_f32_e32 v40, v40, v45
	v_add_f32_e32 v43, v43, v48
	v_mul_f32_e32 v45, 0xbf7ee86f, v32
	v_mov_b32_e32 v48, v47
	v_fmac_f32_e32 v47, 0xbf4c4adb, v33
	v_add_f32_e32 v41, v41, v46
	v_mov_b32_e32 v46, v45
	v_fma_f32 v45, v39, s11, -v45
	v_fmac_f32_e32 v48, 0x3f4c4adb, v33
	v_add_f32_e32 v47, v47, v51
	v_mul_f32_e32 v51, 0xbf7ba420, v38
	v_fmac_f32_e32 v46, 0x3dbcf732, v39
	v_add_f32_e32 v45, v45, v49
	v_add_f32_e32 v48, v48, v52
	v_mul_f32_e32 v49, 0xbf4c4adb, v32
	v_mov_b32_e32 v52, v51
	v_fmac_f32_e32 v51, 0xbe3c28d5, v33
	v_add_f32_e32 v46, v46, v50
	v_mov_b32_e32 v50, v49
	v_fma_f32 v49, v39, s13, -v49
	v_fmac_f32_e32 v52, 0x3e3c28d5, v33
	v_add_f32_e32 v51, v51, v55
	v_mul_f32_e32 v55, 0xbf59a7d5, v38
	v_fmac_f32_e32 v50, 0xbf1a4643, v39
	v_add_f32_e32 v49, v49, v53
	v_add_f32_e32 v52, v52, v56
	v_mul_f32_e32 v53, 0xbe3c28d5, v32
	v_mov_b32_e32 v56, v55
	v_fmac_f32_e32 v55, 0x3f06c442, v33
	v_add_f32_e32 v50, v50, v54
	v_mov_b32_e32 v54, v53
	v_fma_f32 v53, v39, s17, -v53
	v_fmac_f32_e32 v56, 0xbf06c442, v33
	v_add_f32_e32 v55, v55, v59
	v_mul_f32_e32 v59, 0xbe8c1d8e, v38
	v_fmac_f32_e32 v54, 0xbf7ba420, v39
	v_add_f32_e32 v53, v53, v57
	v_add_f32_e32 v56, v56, v60
	v_mul_f32_e32 v57, 0x3f06c442, v32
	v_mov_b32_e32 v60, v59
	v_fmac_f32_e32 v59, 0x3f763a35, v33
	v_add_f32_e32 v54, v54, v58
	v_mov_b32_e32 v58, v57
	v_fma_f32 v57, v39, s16, -v57
	v_fmac_f32_e32 v60, 0xbf763a35, v33
	v_add_f32_e32 v59, v59, v63
	v_mul_f32_e32 v63, 0x3ee437d1, v38
	v_fmac_f32_e32 v58, 0xbf59a7d5, v39
	v_add_f32_e32 v57, v57, v61
	v_add_f32_e32 v60, v60, v64
	v_mul_f32_e32 v61, 0x3f763a35, v32
	v_mov_b32_e32 v64, v63
	v_fmac_f32_e32 v63, 0x3f65296c, v33
	v_mul_f32_e32 v38, 0x3f6eb680, v38
	v_add_f32_e32 v58, v58, v62
	v_mov_b32_e32 v62, v61
	v_fma_f32 v61, v39, s12, -v61
	v_add_f32_e32 v63, v63, v67
	v_mov_b32_e32 v67, v38
	v_fmac_f32_e32 v38, 0x3eb8f4ab, v33
	v_add_f32_e32 v61, v61, v65
	v_fmac_f32_e32 v64, 0xbf65296c, v33
	v_mul_f32_e32 v65, 0x3f65296c, v32
	v_fmac_f32_e32 v67, 0xbeb8f4ab, v33
	v_mul_f32_e32 v32, 0x3eb8f4ab, v32
	v_add_f32_e32 v33, v38, v36
	v_add_f32_e32 v36, v27, v29
	v_add_f32_e32 v64, v64, v68
	v_mov_b32_e32 v68, v32
	v_fma_f32 v32, v39, s6, -v32
	v_sub_f32_e32 v27, v27, v29
	v_mul_f32_e32 v29, 0x3ee437d1, v36
	v_add_f32_e32 v32, v32, v37
	v_add_f32_e32 v37, v28, v30
	v_sub_f32_e32 v28, v28, v30
	v_mov_b32_e32 v30, v29
	v_fmac_f32_e32 v30, 0x3f65296c, v28
	v_fmac_f32_e32 v62, 0xbe8c1d8e, v39
	v_add_f32_e32 v30, v30, v35
	v_mul_f32_e32 v35, 0xbf65296c, v27
	v_fmac_f32_e32 v29, 0xbf65296c, v28
	v_add_f32_e32 v62, v62, v66
	v_mov_b32_e32 v66, v65
	v_mov_b32_e32 v38, v35
	v_add_f32_e32 v29, v29, v34
	v_fma_f32 v34, v37, s10, -v35
	v_mul_f32_e32 v35, 0xbf1a4643, v36
	v_fmac_f32_e32 v66, 0x3ee437d1, v39
	v_fma_f32 v65, v39, s10, -v65
	v_fmac_f32_e32 v68, 0x3f6eb680, v39
	v_mov_b32_e32 v39, v35
	v_fmac_f32_e32 v35, 0xbf4c4adb, v28
	v_fmac_f32_e32 v38, 0x3ee437d1, v37
	v_add_f32_e32 v34, v34, v40
	v_fmac_f32_e32 v39, 0x3f4c4adb, v28
	v_mul_f32_e32 v40, 0xbf4c4adb, v27
	v_add_f32_e32 v35, v35, v42
	v_mul_f32_e32 v42, 0xbf7ba420, v36
	v_add_f32_e32 v38, v38, v41
	v_add_f32_e32 v39, v39, v43
	v_mov_b32_e32 v41, v40
	v_fma_f32 v40, v37, s13, -v40
	v_mov_b32_e32 v43, v42
	v_fmac_f32_e32 v42, 0x3e3c28d5, v28
	v_fmac_f32_e32 v41, 0xbf1a4643, v37
	v_add_f32_e32 v40, v40, v45
	v_fmac_f32_e32 v43, 0xbe3c28d5, v28
	v_mul_f32_e32 v45, 0x3e3c28d5, v27
	v_add_f32_e32 v42, v42, v47
	v_mul_f32_e32 v47, 0xbe8c1d8e, v36
	v_add_f32_e32 v41, v41, v46
	v_add_f32_e32 v43, v43, v48
	v_mov_b32_e32 v46, v45
	v_fma_f32 v45, v37, s17, -v45
	;; [unrolled: 12-line block ×5, first 2 shown]
	v_mov_b32_e32 v60, v59
	v_fmac_f32_e32 v59, 0xbf7ee86f, v28
	v_mul_f32_e32 v36, 0xbf59a7d5, v36
	v_fmac_f32_e32 v58, 0x3f6eb680, v37
	v_add_f32_e32 v57, v57, v61
	v_mul_f32_e32 v61, 0xbf7ee86f, v27
	v_add_f32_e32 v59, v59, v63
	v_mov_b32_e32 v63, v36
	v_add_f32_e32 v67, v67, v71
	v_add_f32_e32 v58, v58, v62
	v_fmac_f32_e32 v60, 0x3f7ee86f, v28
	v_mov_b32_e32 v62, v61
	v_fmac_f32_e32 v63, 0x3f06c442, v28
	v_mul_f32_e32 v27, 0xbf06c442, v27
	v_add_f32_e32 v66, v66, v70
	v_add_f32_e32 v60, v60, v64
	v_fmac_f32_e32 v62, 0x3dbcf732, v37
	v_add_f32_e32 v63, v63, v67
	v_mov_b32_e32 v64, v27
	v_fma_f32 v27, v37, s16, -v27
	v_add_f32_e32 v67, v23, v25
	v_add_f32_e32 v68, v68, v72
	;; [unrolled: 1-line block ×3, first 2 shown]
	v_fmac_f32_e32 v64, 0xbf59a7d5, v37
	v_add_f32_e32 v66, v27, v32
	v_mul_f32_e32 v27, 0x3dbcf732, v67
	v_add_f32_e32 v65, v65, v69
	v_fma_f32 v61, v37, s11, -v61
	v_add_f32_e32 v64, v64, v68
	v_fmac_f32_e32 v36, 0xbf06c442, v28
	v_add_f32_e32 v68, v24, v26
	v_sub_f32_e32 v23, v23, v25
	v_sub_f32_e32 v24, v24, v26
	v_mov_b32_e32 v25, v27
	v_add_f32_e32 v61, v61, v65
	v_add_f32_e32 v65, v36, v33
	v_fmac_f32_e32 v25, 0x3f7ee86f, v24
	v_mul_f32_e32 v33, 0xbe3c28d5, v23
	v_add_f32_e32 v25, v25, v30
	v_fmac_f32_e32 v27, 0xbf7ee86f, v24
	v_mul_f32_e32 v32, 0xbf7ba420, v67
	v_mov_b32_e32 v30, v33
	v_mul_f32_e32 v28, 0xbf7ee86f, v23
	v_add_f32_e32 v27, v27, v29
	v_mov_b32_e32 v29, v32
	v_fmac_f32_e32 v30, 0xbf7ba420, v68
	v_mov_b32_e32 v26, v28
	v_fmac_f32_e32 v29, 0x3e3c28d5, v24
	v_add_f32_e32 v30, v30, v41
	v_fma_f32 v33, v68, s17, -v33
	v_mul_f32_e32 v41, 0x3eb8f4ab, v23
	v_fmac_f32_e32 v26, 0x3dbcf732, v68
	v_add_f32_e32 v29, v29, v39
	v_fmac_f32_e32 v32, 0xbe3c28d5, v24
	v_add_f32_e32 v33, v33, v40
	v_mul_f32_e32 v37, 0x3f763a35, v23
	v_mul_f32_e32 v40, 0x3f6eb680, v67
	v_mov_b32_e32 v39, v41
	v_add_f32_e32 v26, v26, v38
	v_fma_f32 v28, v68, s11, -v28
	v_add_f32_e32 v32, v32, v35
	v_mul_f32_e32 v36, 0xbe8c1d8e, v67
	v_mov_b32_e32 v35, v37
	v_mov_b32_e32 v38, v40
	v_fmac_f32_e32 v39, 0x3f6eb680, v68
	v_add_f32_e32 v28, v28, v34
	v_mov_b32_e32 v34, v36
	v_fmac_f32_e32 v35, 0xbe8c1d8e, v68
	v_fmac_f32_e32 v38, 0xbeb8f4ab, v24
	v_add_f32_e32 v39, v39, v50
	v_mul_f32_e32 v50, 0xbf06c442, v23
	v_fmac_f32_e32 v34, 0xbf763a35, v24
	v_add_f32_e32 v35, v35, v46
	v_add_f32_e32 v38, v38, v48
	v_mul_f32_e32 v46, 0xbf65296c, v23
	v_mov_b32_e32 v48, v50
	v_add_f32_e32 v34, v34, v43
	v_fma_f32 v41, v68, s6, -v41
	v_mov_b32_e32 v43, v46
	v_fmac_f32_e32 v48, 0xbf59a7d5, v68
	v_fmac_f32_e32 v40, 0x3eb8f4ab, v24
	v_add_f32_e32 v41, v41, v49
	v_fmac_f32_e32 v43, 0x3ee437d1, v68
	v_mul_f32_e32 v49, 0xbf59a7d5, v67
	v_add_f32_e32 v48, v48, v58
	v_fma_f32 v50, v68, s16, -v50
	v_mul_f32_e32 v58, 0x3f2c7751, v23
	v_fma_f32 v37, v68, s12, -v37
	v_add_f32_e32 v40, v40, v47
	v_add_f32_e32 v43, v43, v54
	v_mov_b32_e32 v47, v49
	v_fmac_f32_e32 v49, 0xbf06c442, v24
	v_add_f32_e32 v50, v50, v57
	v_mul_f32_e32 v54, 0x3f4c4adb, v23
	v_mul_f32_e32 v57, 0x3f3d2fb0, v67
	v_mov_b32_e32 v23, v58
	v_fmac_f32_e32 v36, 0x3f763a35, v24
	v_add_f32_e32 v37, v37, v45
	v_mul_f32_e32 v45, 0x3ee437d1, v67
	v_fma_f32 v46, v68, s10, -v46
	v_fmac_f32_e32 v47, 0x3f06c442, v24
	v_add_f32_e32 v49, v49, v55
	v_mov_b32_e32 v55, v57
	v_fmac_f32_e32 v23, 0x3f3d2fb0, v68
	v_fmac_f32_e32 v57, 0x3f2c7751, v24
	v_add_f32_e32 v36, v36, v42
	v_mov_b32_e32 v42, v45
	v_fmac_f32_e32 v45, 0xbf65296c, v24
	v_add_f32_e32 v46, v46, v53
	v_add_f32_e32 v47, v47, v56
	v_mul_f32_e32 v53, 0xbf1a4643, v67
	v_add_f32_e32 v56, v23, v64
	v_add_f32_e32 v23, v57, v65
	;; [unrolled: 1-line block ×4, first 2 shown]
	v_mov_b32_e32 v51, v53
	v_sub_f32_e32 v19, v19, v21
	v_mul_f32_e32 v21, 0xbe8c1d8e, v57
	v_fmac_f32_e32 v42, 0x3f65296c, v24
	v_fmac_f32_e32 v51, 0xbf4c4adb, v24
	;; [unrolled: 1-line block ×4, first 2 shown]
	v_fma_f32 v24, v68, s7, -v58
	v_add_f32_e32 v58, v20, v22
	v_sub_f32_e32 v20, v20, v22
	v_mov_b32_e32 v22, v21
	v_fmac_f32_e32 v22, 0x3f763a35, v20
	v_add_f32_e32 v22, v22, v25
	v_mul_f32_e32 v25, 0xbf763a35, v19
	v_fmac_f32_e32 v21, 0xbf763a35, v20
	v_add_f32_e32 v53, v53, v59
	v_mov_b32_e32 v59, v25
	v_add_f32_e32 v21, v21, v27
	v_fma_f32 v25, v58, s12, -v25
	v_mul_f32_e32 v27, 0xbf59a7d5, v57
	v_add_f32_e32 v25, v25, v28
	v_mov_b32_e32 v28, v27
	v_fmac_f32_e32 v28, 0xbf06c442, v20
	v_fmac_f32_e32 v59, 0xbe8c1d8e, v58
	v_add_f32_e32 v28, v28, v29
	v_mul_f32_e32 v29, 0x3f06c442, v19
	v_fmac_f32_e32 v27, 0x3f06c442, v20
	v_add_f32_e32 v26, v59, v26
	v_mov_b32_e32 v59, v29
	v_add_f32_e32 v27, v27, v32
	v_fma_f32 v29, v58, s16, -v29
	v_mul_f32_e32 v32, 0x3f3d2fb0, v57
	v_add_f32_e32 v29, v29, v33
	v_mov_b32_e32 v33, v32
	v_fmac_f32_e32 v33, 0xbf2c7751, v20
	v_fmac_f32_e32 v59, 0xbf59a7d5, v58
	v_add_f32_e32 v33, v33, v34
	v_mul_f32_e32 v34, 0x3f2c7751, v19
	v_add_f32_e32 v30, v59, v30
	v_mov_b32_e32 v59, v34
	v_fmac_f32_e32 v32, 0x3f2c7751, v20
	v_fma_f32 v34, v58, s7, -v34
	v_add_f32_e32 v32, v32, v36
	v_add_f32_e32 v36, v34, v37
	v_mul_f32_e32 v34, 0x3ee437d1, v57
	v_mov_b32_e32 v37, v34
	v_fmac_f32_e32 v37, 0x3f65296c, v20
	v_add_f32_e32 v37, v37, v38
	v_mul_f32_e32 v38, 0xbf65296c, v19
	v_fmac_f32_e32 v34, 0xbf65296c, v20
	v_add_f32_e32 v42, v42, v52
	v_add_f32_e32 v51, v51, v60
	v_mov_b32_e32 v52, v54
	v_fma_f32 v54, v68, s13, -v54
	v_add_f32_e32 v60, v34, v40
	v_fma_f32 v34, v58, s10, -v38
	v_add_f32_e32 v54, v54, v61
	v_fmac_f32_e32 v59, 0x3f3d2fb0, v58
	v_add_f32_e32 v61, v34, v41
	v_mul_f32_e32 v34, 0xbf7ba420, v57
	v_add_f32_e32 v35, v59, v35
	v_mov_b32_e32 v59, v38
	v_mov_b32_e32 v38, v34
	v_fmac_f32_e32 v52, 0xbf1a4643, v68
	v_fmac_f32_e32 v38, 0x3e3c28d5, v20
	v_add_f32_e32 v52, v52, v62
	v_add_f32_e32 v62, v38, v42
	v_mul_f32_e32 v38, 0xbe3c28d5, v19
	v_fmac_f32_e32 v34, 0xbe3c28d5, v20
	v_add_f32_e32 v64, v34, v45
	v_fma_f32 v34, v58, s17, -v38
	v_fmac_f32_e32 v59, 0x3ee437d1, v58
	v_add_f32_e32 v65, v34, v46
	v_mul_f32_e32 v34, 0x3dbcf732, v57
	v_add_f32_e32 v59, v59, v39
	v_mov_b32_e32 v39, v38
	v_mov_b32_e32 v38, v34
	v_fmac_f32_e32 v38, 0xbf7ee86f, v20
	v_add_f32_e32 v24, v24, v66
	v_add_f32_e32 v66, v38, v47
	v_mul_f32_e32 v38, 0x3f7ee86f, v19
	v_fmac_f32_e32 v34, 0x3f7ee86f, v20
	v_add_f32_e32 v49, v34, v49
	v_fma_f32 v34, v58, s11, -v38
	v_fmac_f32_e32 v39, 0xbf7ba420, v58
	v_add_f32_e32 v50, v34, v50
	v_mul_f32_e32 v34, 0x3f6eb680, v57
	v_add_f32_e32 v55, v55, v63
	v_add_f32_e32 v63, v39, v43
	v_mov_b32_e32 v39, v38
	v_mov_b32_e32 v38, v34
	v_fmac_f32_e32 v38, 0x3eb8f4ab, v20
	v_add_f32_e32 v51, v38, v51
	v_mul_f32_e32 v38, 0xbeb8f4ab, v19
	v_fmac_f32_e32 v34, 0xbeb8f4ab, v20
	v_add_f32_e32 v53, v34, v53
	v_fma_f32 v34, v58, s6, -v38
	v_fmac_f32_e32 v39, 0x3dbcf732, v58
	v_add_f32_e32 v54, v34, v54
	v_mul_f32_e32 v34, 0xbf1a4643, v57
	v_add_f32_e32 v67, v39, v48
	v_mov_b32_e32 v39, v38
	v_mov_b32_e32 v38, v34
	v_fmac_f32_e32 v38, 0x3f4c4adb, v20
	v_mul_f32_e32 v19, 0xbf4c4adb, v19
	v_add_f32_e32 v55, v38, v55
	v_mov_b32_e32 v38, v19
	v_fma_f32 v19, v58, s13, -v19
	v_fmac_f32_e32 v39, 0x3f6eb680, v58
	v_fmac_f32_e32 v38, 0xbf1a4643, v58
	v_add_f32_e32 v58, v19, v24
	v_add_f32_e32 v19, v15, v17
	v_sub_f32_e32 v15, v15, v17
	v_mul_f32_e32 v17, 0xbf1a4643, v19
	v_add_f32_e32 v68, v16, v18
	v_sub_f32_e32 v16, v16, v18
	v_mov_b32_e32 v18, v17
	v_fmac_f32_e32 v18, 0x3f4c4adb, v16
	v_add_f32_e32 v47, v18, v22
	v_mul_f32_e32 v18, 0xbf4c4adb, v15
	v_fmac_f32_e32 v17, 0xbf4c4adb, v16
	v_add_f32_e32 v42, v17, v21
	v_fma_f32 v17, v68, s13, -v18
	v_add_f32_e32 v43, v17, v25
	v_mul_f32_e32 v17, 0xbe8c1d8e, v19
	v_fmac_f32_e32 v34, 0xbf4c4adb, v20
	v_mov_b32_e32 v20, v18
	v_mov_b32_e32 v18, v17
	v_fmac_f32_e32 v18, 0xbf763a35, v16
	v_add_f32_e32 v45, v18, v28
	v_mul_f32_e32 v18, 0x3f763a35, v15
	v_fmac_f32_e32 v17, 0x3f763a35, v16
	v_add_f32_e32 v56, v38, v56
	v_add_f32_e32 v38, v17, v27
	v_fma_f32 v17, v68, s12, -v18
	v_add_f32_e32 v52, v39, v52
	v_fmac_f32_e32 v20, 0xbf1a4643, v68
	v_add_f32_e32 v39, v17, v29
	v_mul_f32_e32 v17, 0x3f6eb680, v19
	v_add_f32_e32 v48, v20, v26
	v_mov_b32_e32 v20, v18
	v_mov_b32_e32 v18, v17
	v_fmac_f32_e32 v18, 0x3eb8f4ab, v16
	v_fmac_f32_e32 v20, 0xbe8c1d8e, v68
	v_add_f32_e32 v40, v18, v33
	v_mul_f32_e32 v18, 0xbeb8f4ab, v15
	v_add_f32_e32 v46, v20, v30
	v_mov_b32_e32 v20, v18
	v_fmac_f32_e32 v17, 0xbeb8f4ab, v16
	v_add_f32_e32 v57, v34, v23
	v_fmac_f32_e32 v20, 0x3f6eb680, v68
	v_add_f32_e32 v34, v17, v32
	v_fma_f32 v17, v68, s6, -v18
	v_add_f32_e32 v41, v20, v35
	v_add_f32_e32 v35, v17, v36
	v_mul_f32_e32 v17, 0xbf59a7d5, v19
	v_mov_b32_e32 v18, v17
	v_fmac_f32_e32 v18, 0x3f06c442, v16
	v_add_f32_e32 v36, v18, v37
	v_mul_f32_e32 v18, 0xbf06c442, v15
	v_fmac_f32_e32 v17, 0xbf06c442, v16
	v_add_f32_e32 v29, v17, v60
	v_fma_f32 v17, v68, s16, -v18
	v_add_f32_e32 v30, v17, v61
	v_mul_f32_e32 v17, 0x3dbcf732, v19
	v_mov_b32_e32 v20, v18
	v_mov_b32_e32 v18, v17
	v_fmac_f32_e32 v18, 0xbf7ee86f, v16
	v_add_f32_e32 v32, v18, v62
	v_mul_f32_e32 v18, 0x3f7ee86f, v15
	v_fmac_f32_e32 v17, 0x3f7ee86f, v16
	v_add_f32_e32 v25, v17, v64
	v_fma_f32 v17, v68, s11, -v18
	v_fmac_f32_e32 v20, 0xbf59a7d5, v68
	v_add_f32_e32 v26, v17, v65
	v_mul_f32_e32 v17, 0x3f3d2fb0, v19
	v_add_f32_e32 v37, v20, v59
	v_mov_b32_e32 v20, v18
	v_mov_b32_e32 v18, v17
	v_fmac_f32_e32 v18, 0x3f2c7751, v16
	v_add_f32_e32 v27, v18, v66
	v_mul_f32_e32 v18, 0xbf2c7751, v15
	v_fmac_f32_e32 v17, 0xbf2c7751, v16
	v_add_f32_e32 v21, v17, v49
	v_fma_f32 v17, v68, s7, -v18
	v_fmac_f32_e32 v20, 0x3dbcf732, v68
	v_add_f32_e32 v22, v17, v50
	v_mul_f32_e32 v17, 0xbf7ba420, v19
	v_add_f32_e32 v33, v20, v63
	v_mov_b32_e32 v20, v18
	v_mov_b32_e32 v18, v17
	v_fmac_f32_e32 v18, 0x3e3c28d5, v16
	v_fmac_f32_e32 v20, 0x3f3d2fb0, v68
	v_add_f32_e32 v23, v18, v51
	v_mul_f32_e32 v18, 0xbe3c28d5, v15
	v_mul_f32_e32 v49, 0x3ee437d1, v19
	;; [unrolled: 1-line block ×3, first 2 shown]
	v_add_f32_e32 v28, v20, v67
	v_mov_b32_e32 v20, v18
	v_mov_b32_e32 v19, v49
	;; [unrolled: 1-line block ×3, first 2 shown]
	v_fmac_f32_e32 v20, 0xbf7ba420, v68
	v_fmac_f32_e32 v17, 0xbe3c28d5, v16
	;; [unrolled: 1-line block ×5, first 2 shown]
	v_fma_f32 v16, v68, s10, -v50
	v_add_f32_e32 v50, v11, v13
	v_add_f32_e32 v24, v20, v52
	;; [unrolled: 1-line block ×5, first 2 shown]
	v_sub_f32_e32 v13, v11, v13
	v_sub_f32_e32 v11, v12, v14
	v_mul_f32_e32 v12, 0xbf59a7d5, v50
	v_mov_b32_e32 v14, v12
	v_fmac_f32_e32 v14, 0x3f06c442, v11
	v_add_f32_e32 v14, v14, v47
	v_mul_f32_e32 v47, 0xbf06c442, v13
	v_fmac_f32_e32 v12, 0xbf06c442, v11
	v_add_f32_e32 v12, v12, v42
	v_fma_f32 v42, v49, s16, -v47
	v_add_f32_e32 v42, v42, v43
	v_mul_f32_e32 v43, 0x3ee437d1, v50
	v_mov_b32_e32 v51, v47
	v_mov_b32_e32 v47, v43
	v_fmac_f32_e32 v47, 0xbf65296c, v11
	v_add_f32_e32 v45, v47, v45
	v_mul_f32_e32 v47, 0x3f65296c, v13
	v_fmac_f32_e32 v43, 0x3f65296c, v11
	v_add_f32_e32 v38, v43, v38
	v_fma_f32 v43, v49, s10, -v47
	v_fmac_f32_e32 v51, 0xbf59a7d5, v49
	v_add_f32_e32 v39, v43, v39
	v_mul_f32_e32 v43, 0x3dbcf732, v50
	v_add_f32_e32 v48, v51, v48
	v_mov_b32_e32 v51, v47
	v_mov_b32_e32 v47, v43
	v_fmac_f32_e32 v47, 0x3f7ee86f, v11
	v_add_f32_e32 v40, v47, v40
	v_mul_f32_e32 v47, 0xbf7ee86f, v13
	v_fmac_f32_e32 v43, 0xbf7ee86f, v11
	v_add_f32_e32 v34, v43, v34
	v_fma_f32 v43, v49, s11, -v47
	v_fmac_f32_e32 v51, 0x3ee437d1, v49
	v_add_f32_e32 v35, v43, v35
	v_mul_f32_e32 v43, 0xbf1a4643, v50
	v_add_f32_e32 v46, v51, v46
	v_mov_b32_e32 v51, v47
	v_mov_b32_e32 v47, v43
	v_fmac_f32_e32 v47, 0xbf4c4adb, v11
	v_add_f32_e32 v36, v47, v36
	v_mul_f32_e32 v47, 0x3f4c4adb, v13
	v_fmac_f32_e32 v43, 0x3f4c4adb, v11
	v_add_f32_e32 v29, v43, v29
	v_fma_f32 v43, v49, s13, -v47
	v_fmac_f32_e32 v51, 0x3dbcf732, v49
	v_add_f32_e32 v30, v43, v30
	v_mul_f32_e32 v43, 0x3f6eb680, v50
	v_add_f32_e32 v41, v51, v41
	v_mov_b32_e32 v51, v47
	v_mov_b32_e32 v47, v43
	v_fmac_f32_e32 v47, 0x3eb8f4ab, v11
	v_add_f32_e32 v32, v47, v32
	v_mul_f32_e32 v47, 0xbeb8f4ab, v13
	v_fmac_f32_e32 v43, 0xbeb8f4ab, v11
	v_add_f32_e32 v25, v43, v25
	v_fma_f32 v43, v49, s6, -v47
	v_fmac_f32_e32 v51, 0xbf1a4643, v49
	v_add_f32_e32 v26, v43, v26
	v_mul_f32_e32 v43, 0xbf7ba420, v50
	v_add_f32_e32 v37, v51, v37
	v_mov_b32_e32 v51, v47
	v_mov_b32_e32 v47, v43
	v_fmac_f32_e32 v47, 0x3e3c28d5, v11
	v_add_f32_e32 v27, v47, v27
	v_mul_f32_e32 v47, 0xbe3c28d5, v13
	v_fmac_f32_e32 v43, 0xbe3c28d5, v11
	v_add_f32_e32 v21, v43, v21
	v_fma_f32 v43, v49, s17, -v47
	v_fmac_f32_e32 v51, 0x3f6eb680, v49
	v_add_f32_e32 v22, v43, v22
	v_mul_f32_e32 v43, 0x3f3d2fb0, v50
	v_add_f32_e32 v33, v51, v33
	v_mov_b32_e32 v51, v47
	v_mov_b32_e32 v47, v43
	v_fmac_f32_e32 v47, 0xbf2c7751, v11
	v_add_f32_e32 v17, v17, v53
	v_fma_f32 v18, v68, s17, -v18
	v_add_f32_e32 v23, v47, v23
	v_mul_f32_e32 v47, 0x3f2c7751, v13
	v_fmac_f32_e32 v43, 0x3f2c7751, v11
	v_add_f32_e32 v18, v18, v54
	v_add_f32_e32 v17, v43, v17
	v_fma_f32 v43, v49, s7, -v47
	v_fmac_f32_e32 v51, 0xbf7ba420, v49
	v_add_f32_e32 v18, v43, v18
	v_mul_f32_e32 v43, 0xbe8c1d8e, v50
	v_add_f32_e32 v28, v51, v28
	v_mov_b32_e32 v51, v47
	v_mov_b32_e32 v47, v43
	v_fmac_f32_e32 v43, 0xbf763a35, v11
	v_add_f32_e32 v19, v19, v55
	v_fmac_f32_e32 v47, 0x3f763a35, v11
	v_mul_f32_e32 v13, 0xbf763a35, v13
	v_add_f32_e32 v11, v43, v15
	v_add_f32_e32 v15, v7, v9
	;; [unrolled: 1-line block ×4, first 2 shown]
	v_mov_b32_e32 v47, v13
	v_fma_f32 v13, v49, s12, -v13
	v_sub_f32_e32 v7, v7, v9
	v_mul_f32_e32 v9, 0xbf7ba420, v15
	v_add_f32_e32 v13, v13, v16
	v_add_f32_e32 v16, v8, v10
	v_sub_f32_e32 v8, v8, v10
	v_mov_b32_e32 v10, v9
	v_fmac_f32_e32 v10, 0x3e3c28d5, v8
	v_add_f32_e32 v10, v10, v14
	v_mul_f32_e32 v14, 0xbe3c28d5, v7
	v_fmac_f32_e32 v9, 0xbe3c28d5, v8
	v_mov_b32_e32 v43, v14
	v_add_f32_e32 v9, v9, v12
	v_fma_f32 v12, v16, s17, -v14
	v_mul_f32_e32 v14, 0x3f6eb680, v15
	v_add_f32_e32 v12, v12, v42
	v_mov_b32_e32 v42, v14
	v_fmac_f32_e32 v42, 0xbeb8f4ab, v8
	v_add_f32_e32 v42, v42, v45
	v_mul_f32_e32 v45, 0x3eb8f4ab, v7
	v_fmac_f32_e32 v14, 0x3eb8f4ab, v8
	v_add_f32_e32 v14, v14, v38
	v_fma_f32 v38, v16, s6, -v45
	v_fmac_f32_e32 v47, 0xbe8c1d8e, v49
	v_add_f32_e32 v38, v38, v39
	v_mul_f32_e32 v39, 0xbf59a7d5, v15
	v_add_f32_e32 v20, v47, v20
	v_mov_b32_e32 v47, v45
	v_mov_b32_e32 v45, v39
	v_fmac_f32_e32 v45, 0x3f06c442, v8
	v_fmac_f32_e32 v47, 0x3f6eb680, v16
	v_add_f32_e32 v40, v45, v40
	v_mul_f32_e32 v45, 0xbf06c442, v7
	v_fmac_f32_e32 v39, 0xbf06c442, v8
	v_add_f32_e32 v46, v47, v46
	v_mov_b32_e32 v47, v45
	v_add_f32_e32 v34, v39, v34
	v_fma_f32 v39, v16, s16, -v45
	v_fmac_f32_e32 v47, 0xbf59a7d5, v16
	v_add_f32_e32 v39, v39, v35
	v_mul_f32_e32 v35, 0x3f3d2fb0, v15
	v_add_f32_e32 v47, v47, v41
	v_mov_b32_e32 v41, v35
	v_fmac_f32_e32 v41, 0xbf2c7751, v8
	v_add_f32_e32 v36, v41, v36
	v_mul_f32_e32 v41, 0x3f2c7751, v7
	v_fmac_f32_e32 v35, 0x3f2c7751, v8
	v_mov_b32_e32 v45, v41
	v_add_f32_e32 v29, v35, v29
	v_fma_f32 v35, v16, s7, -v41
	v_fmac_f32_e32 v45, 0x3f3d2fb0, v16
	v_add_f32_e32 v30, v35, v30
	v_mul_f32_e32 v35, 0xbf1a4643, v15
	v_add_f32_e32 v45, v45, v37
	v_mov_b32_e32 v37, v35
	v_fmac_f32_e32 v37, 0x3f4c4adb, v8
	v_add_f32_e32 v32, v37, v32
	v_mul_f32_e32 v37, 0xbf4c4adb, v7
	v_mov_b32_e32 v41, v37
	v_fmac_f32_e32 v43, 0xbf7ba420, v16
	v_fmac_f32_e32 v41, 0xbf1a4643, v16
	v_add_f32_e32 v43, v43, v48
	v_add_f32_e32 v48, v41, v33
	v_fma_f32 v33, v16, s13, -v37
	v_fmac_f32_e32 v51, 0x3f3d2fb0, v49
	v_add_f32_e32 v49, v33, v26
	v_mul_f32_e32 v26, 0x3ee437d1, v15
	v_mov_b32_e32 v33, v26
	v_fmac_f32_e32 v33, 0xbf65296c, v8
	v_fmac_f32_e32 v35, 0xbf4c4adb, v8
	v_add_f32_e32 v27, v33, v27
	v_mul_f32_e32 v33, 0x3f65296c, v7
	v_fmac_f32_e32 v26, 0x3f65296c, v8
	v_add_f32_e32 v25, v35, v25
	v_mov_b32_e32 v35, v33
	v_add_f32_e32 v21, v26, v21
	v_fma_f32 v26, v16, s10, -v33
	v_fmac_f32_e32 v35, 0x3ee437d1, v16
	v_add_f32_e32 v22, v26, v22
	v_mul_f32_e32 v26, 0xbe8c1d8e, v15
	v_add_f32_e32 v50, v35, v28
	v_mov_b32_e32 v28, v26
	v_fmac_f32_e32 v28, 0x3f763a35, v8
	v_add_f32_e32 v23, v28, v23
	v_mul_f32_e32 v28, 0xbf763a35, v7
	v_fmac_f32_e32 v26, 0xbf763a35, v8
	v_add_f32_e32 v17, v26, v17
	v_fma_f32 v26, v16, s12, -v28
	v_mul_f32_e32 v15, 0x3dbcf732, v15
	v_add_f32_e32 v18, v26, v18
	v_mov_b32_e32 v26, v15
	v_fmac_f32_e32 v26, 0xbf7ee86f, v8
	v_mul_f32_e32 v7, 0x3f7ee86f, v7
	v_add_f32_e32 v19, v26, v19
	v_mov_b32_e32 v26, v7
	v_fmac_f32_e32 v15, 0x3f7ee86f, v8
	v_fma_f32 v7, v16, s11, -v7
	v_add_f32_e32 v8, v15, v11
	v_add_f32_e32 v11, v7, v13
	v_lshlrev_b32_e32 v7, 2, v4
	s_load_dwordx2 s[4:5], s[2:3], 0x0
	v_add_u32_e32 v4, 0, v7
	s_movk_i32 s2, 0x44
	v_mad_u32_u24 v13, v3, s2, v4
	v_mov_b32_e32 v33, v28
	ds_write2_b32 v13, v31, v10 offset1:1
	ds_write2_b32 v13, v42, v40 offset0:2 offset1:3
	ds_write2_b32 v13, v36, v32 offset0:4 offset1:5
	;; [unrolled: 1-line block ×7, first 2 shown]
	ds_write_b32 v13, v9 offset:64
	v_lshlrev_b32_e32 v8, 2, v3
	v_add_f32_e32 v24, v51, v24
	v_fmac_f32_e32 v33, 0xbe8c1d8e, v16
	v_add_u32_e32 v35, v4, v8
	v_add3_u32 v4, 0, v8, v7
	v_add_f32_e32 v24, v33, v24
	v_fmac_f32_e32 v26, 0x3dbcf732, v16
	v_add_u32_e32 v21, 0x200, v4
	v_add_u32_e32 v33, 0x400, v4
	;; [unrolled: 1-line block ×3, first 2 shown]
	v_add_f32_e32 v53, v26, v20
	s_waitcnt lgkmcnt(0)
	s_barrier
	ds_read_b32 v89, v35
	ds_read2_b32 v[8:9], v4 offset0:34 offset1:68
	ds_read2_b32 v[19:20], v4 offset0:102 offset1:136
	;; [unrolled: 1-line block ×8, first 2 shown]
	s_waitcnt lgkmcnt(0)
	s_barrier
	ds_write2_b32 v13, v0, v43 offset1:1
	ds_write2_b32 v13, v46, v47 offset0:2 offset1:3
	ds_write2_b32 v13, v45, v48 offset0:4 offset1:5
	;; [unrolled: 1-line block ×7, first 2 shown]
	ds_write_b32 v13, v12 offset:64
	v_subrev_u32_e32 v0, 17, v3
	v_cmp_gt_u32_e32 vcc, 17, v3
	v_cndmask_b32_e32 v10, v0, v3, vcc
	v_lshlrev_b32_e32 v11, 4, v10
	v_mov_b32_e32 v12, 0
	v_lshlrev_b64 v[11:12], 3, v[11:12]
	v_mov_b32_e32 v13, s9
	v_add_co_u32_e64 v30, s[2:3], s8, v11
	v_addc_co_u32_e64 v31, s[2:3], v13, v12, s[2:3]
	s_waitcnt lgkmcnt(0)
	s_barrier
	global_load_dwordx4 v[11:14], v[30:31], off
	global_load_dwordx4 v[15:18], v[30:31], off offset:16
	global_load_dwordx4 v[22:25], v[30:31], off offset:32
	;; [unrolled: 1-line block ×7, first 2 shown]
	ds_read_b32 v48, v35
	ds_read2_b32 v[30:31], v4 offset0:34 offset1:68
	ds_read2_b32 v[46:47], v4 offset0:102 offset1:136
	;; [unrolled: 1-line block ×8, first 2 shown]
	v_cmp_lt_u32_e64 s[2:3], 16, v3
	v_lshlrev_b32_e32 v10, 2, v10
	s_waitcnt vmcnt(0) lgkmcnt(0)
	s_barrier
	v_mul_f32_e32 v32, v30, v12
	v_fma_f32 v53, v8, v11, -v32
	v_mul_f32_e32 v54, v8, v12
	v_mul_f32_e32 v8, v31, v14
	v_fma_f32 v49, v9, v13, -v8
	v_mul_f32_e32 v8, v46, v16
	v_fma_f32 v43, v19, v15, -v8
	;; [unrolled: 2-line block ×4, first 2 shown]
	v_mul_f32_e32 v8, v78, v25
	v_fmac_f32_e32 v54, v30, v11
	v_fma_f32 v30, v27, v24, -v8
	v_mul_f32_e32 v8, v79, v56
	v_mul_f32_e32 v50, v9, v14
	;; [unrolled: 1-line block ×3, first 2 shown]
	v_fma_f32 v26, v28, v55, -v8
	v_mul_f32_e32 v8, v80, v58
	v_fmac_f32_e32 v50, v31, v13
	v_fmac_f32_e32 v34, v77, v22
	v_mul_f32_e32 v31, v27, v25
	v_fma_f32 v22, v29, v57, -v8
	v_mul_f32_e32 v8, v81, v60
	v_fmac_f32_e32 v31, v78, v24
	v_fma_f32 v24, v36, v59, -v8
	v_mul_f32_e32 v8, v82, v62
	v_mul_f32_e32 v27, v28, v56
	v_fma_f32 v28, v37, v61, -v8
	v_mul_f32_e32 v8, v83, v64
	v_mul_f32_e32 v23, v29, v58
	v_mul_f32_e32 v29, v37, v62
	v_fma_f32 v37, v41, v63, -v8
	v_mul_f32_e32 v8, v84, v66
	;; [unrolled: 4-line block ×3, first 2 shown]
	v_fmac_f32_e32 v45, v46, v15
	v_mul_f32_e32 v40, v20, v18
	v_fma_f32 v46, v51, v67, -v8
	v_mul_f32_e32 v8, v86, v70
	v_fmac_f32_e32 v40, v47, v17
	v_mul_f32_e32 v47, v51, v68
	v_fma_f32 v51, v52, v69, -v8
	v_mul_f32_e32 v8, v87, v72
	v_fmac_f32_e32 v27, v79, v55
	v_fma_f32 v55, v75, v71, -v8
	v_mul_f32_e32 v8, v88, v74
	v_fmac_f32_e32 v23, v80, v57
	v_fma_f32 v57, v76, v73, -v8
	v_add_f32_e32 v8, v89, v53
	v_add_f32_e32 v8, v8, v49
	;; [unrolled: 1-line block ×12, first 2 shown]
	v_mul_f32_e32 v58, v76, v74
	v_add_f32_e32 v8, v8, v46
	v_fmac_f32_e32 v58, v88, v73
	v_add_f32_e32 v8, v8, v51
	v_mul_f32_e32 v25, v36, v60
	v_mul_f32_e32 v56, v75, v72
	v_add_f32_e32 v8, v8, v55
	v_sub_f32_e32 v9, v54, v58
	v_fmac_f32_e32 v25, v81, v59
	v_fmac_f32_e32 v29, v82, v61
	;; [unrolled: 1-line block ×3, first 2 shown]
	v_add_f32_e32 v19, v8, v57
	v_add_f32_e32 v8, v53, v57
	v_mul_f32_e32 v11, 0xbeb8f4ab, v9
	v_mul_f32_e32 v13, 0xbf2c7751, v9
	v_mul_f32_e32 v15, 0xbf65296c, v9
	v_mul_f32_e32 v17, 0xbf7ee86f, v9
	v_mul_f32_e32 v20, 0xbf763a35, v9
	v_mul_f32_e32 v59, 0xbf4c4adb, v9
	v_mul_f32_e32 v61, 0xbf06c442, v9
	v_mul_f32_e32 v9, 0xbe3c28d5, v9
	v_fmac_f32_e32 v38, v83, v63
	v_mul_f32_e32 v42, v42, v66
	v_fma_f32 v63, v8, s17, -v9
	v_fmac_f32_e32 v9, 0xbf7ba420, v8
	v_sub_f32_e32 v64, v50, v56
	v_fmac_f32_e32 v42, v84, v65
	v_fma_f32 v12, v8, s6, -v11
	v_fmac_f32_e32 v11, 0x3f6eb680, v8
	v_fma_f32 v14, v8, s7, -v13
	v_fmac_f32_e32 v13, 0x3f3d2fb0, v8
	v_fma_f32 v16, v8, s10, -v15
	v_fmac_f32_e32 v15, 0x3ee437d1, v8
	v_fma_f32 v18, v8, s11, -v17
	v_fmac_f32_e32 v17, 0x3dbcf732, v8
	v_fma_f32 v36, v8, s12, -v20
	v_fmac_f32_e32 v20, 0xbe8c1d8e, v8
	v_fma_f32 v60, v8, s13, -v59
	v_fmac_f32_e32 v59, 0xbf1a4643, v8
	v_fma_f32 v62, v8, s16, -v61
	v_fmac_f32_e32 v61, 0xbf59a7d5, v8
	v_add_f32_e32 v8, v89, v9
	v_add_f32_e32 v9, v49, v55
	v_mul_f32_e32 v65, 0xbf2c7751, v64
	v_add_f32_e32 v11, v89, v11
	v_fma_f32 v66, v9, s7, -v65
	v_fmac_f32_e32 v65, 0x3f3d2fb0, v9
	v_add_f32_e32 v12, v89, v12
	v_add_f32_e32 v11, v65, v11
	v_mul_f32_e32 v65, 0xbf7ee86f, v64
	v_add_f32_e32 v13, v89, v13
	v_add_f32_e32 v12, v66, v12
	v_fma_f32 v66, v9, s11, -v65
	v_fmac_f32_e32 v65, 0x3dbcf732, v9
	v_add_f32_e32 v14, v89, v14
	v_add_f32_e32 v13, v65, v13
	v_mul_f32_e32 v65, 0xbf4c4adb, v64
	v_add_f32_e32 v15, v89, v15
	;; [unrolled: 7-line block ×5, first 2 shown]
	v_add_f32_e32 v36, v66, v36
	v_fma_f32 v66, v9, s12, -v65
	v_fmac_f32_e32 v65, 0xbe8c1d8e, v9
	v_add_f32_e32 v60, v89, v60
	v_add_f32_e32 v59, v65, v59
	v_mul_f32_e32 v65, 0x3f65296c, v64
	v_mul_f32_e32 v52, v52, v70
	v_add_f32_e32 v61, v89, v61
	v_add_f32_e32 v60, v66, v60
	v_fma_f32 v66, v9, s10, -v65
	v_fmac_f32_e32 v65, 0x3ee437d1, v9
	v_mul_f32_e32 v64, 0x3eb8f4ab, v64
	v_fmac_f32_e32 v52, v86, v69
	v_add_f32_e32 v61, v65, v61
	v_fma_f32 v65, v9, s6, -v64
	v_fmac_f32_e32 v64, 0x3f6eb680, v9
	v_add_f32_e32 v63, v89, v63
	v_add_f32_e32 v8, v64, v8
	v_sub_f32_e32 v64, v45, v52
	v_add_f32_e32 v62, v89, v62
	v_add_f32_e32 v63, v65, v63
	v_add_f32_e32 v9, v43, v51
	v_mul_f32_e32 v65, 0xbf65296c, v64
	v_add_f32_e32 v62, v66, v62
	v_fma_f32 v66, v9, s10, -v65
	v_fmac_f32_e32 v65, 0x3ee437d1, v9
	v_add_f32_e32 v11, v65, v11
	v_mul_f32_e32 v65, 0xbf4c4adb, v64
	v_add_f32_e32 v12, v66, v12
	v_fma_f32 v66, v9, s13, -v65
	v_fmac_f32_e32 v65, 0xbf1a4643, v9
	v_add_f32_e32 v13, v65, v13
	v_mul_f32_e32 v65, 0x3e3c28d5, v64
	v_add_f32_e32 v14, v66, v14
	v_fma_f32 v66, v9, s17, -v65
	v_fmac_f32_e32 v65, 0xbf7ba420, v9
	v_add_f32_e32 v15, v65, v15
	v_mul_f32_e32 v65, 0x3f763a35, v64
	v_add_f32_e32 v16, v66, v16
	v_fma_f32 v66, v9, s12, -v65
	v_fmac_f32_e32 v65, 0xbe8c1d8e, v9
	v_add_f32_e32 v17, v65, v17
	v_mul_f32_e32 v65, 0x3f2c7751, v64
	v_add_f32_e32 v18, v66, v18
	v_fma_f32 v66, v9, s7, -v65
	v_fmac_f32_e32 v65, 0x3f3d2fb0, v9
	v_add_f32_e32 v20, v65, v20
	v_mul_f32_e32 v65, 0xbeb8f4ab, v64
	v_add_f32_e32 v36, v66, v36
	v_fma_f32 v66, v9, s6, -v65
	v_fmac_f32_e32 v65, 0x3f6eb680, v9
	v_add_f32_e32 v59, v65, v59
	v_mul_f32_e32 v65, 0xbf7ee86f, v64
	v_add_f32_e32 v60, v66, v60
	v_fma_f32 v66, v9, s11, -v65
	v_fmac_f32_e32 v65, 0x3dbcf732, v9
	v_mul_f32_e32 v64, 0xbf06c442, v64
	v_fmac_f32_e32 v47, v85, v67
	v_add_f32_e32 v61, v65, v61
	v_fma_f32 v65, v9, s16, -v64
	v_fmac_f32_e32 v64, 0xbf59a7d5, v9
	v_add_f32_e32 v8, v64, v8
	v_sub_f32_e32 v64, v40, v47
	v_add_f32_e32 v63, v65, v63
	v_add_f32_e32 v9, v39, v46
	v_mul_f32_e32 v65, 0xbf7ee86f, v64
	v_add_f32_e32 v62, v66, v62
	v_fma_f32 v66, v9, s11, -v65
	v_fmac_f32_e32 v65, 0x3dbcf732, v9
	v_add_f32_e32 v11, v65, v11
	v_mul_f32_e32 v65, 0xbe3c28d5, v64
	v_add_f32_e32 v12, v66, v12
	v_fma_f32 v66, v9, s17, -v65
	v_fmac_f32_e32 v65, 0xbf7ba420, v9
	v_add_f32_e32 v13, v65, v13
	v_mul_f32_e32 v65, 0x3f763a35, v64
	v_add_f32_e32 v14, v66, v14
	v_fma_f32 v66, v9, s12, -v65
	v_fmac_f32_e32 v65, 0xbe8c1d8e, v9
	v_add_f32_e32 v15, v65, v15
	v_mul_f32_e32 v65, 0x3eb8f4ab, v64
	v_add_f32_e32 v16, v66, v16
	v_fma_f32 v66, v9, s6, -v65
	v_fmac_f32_e32 v65, 0x3f6eb680, v9
	v_add_f32_e32 v17, v65, v17
	v_mul_f32_e32 v65, 0xbf65296c, v64
	v_add_f32_e32 v18, v66, v18
	v_fma_f32 v66, v9, s10, -v65
	v_fmac_f32_e32 v65, 0x3ee437d1, v9
	v_add_f32_e32 v20, v65, v20
	v_mul_f32_e32 v65, 0xbf06c442, v64
	v_add_f32_e32 v36, v66, v36
	v_fma_f32 v66, v9, s16, -v65
	v_fmac_f32_e32 v65, 0xbf59a7d5, v9
	v_add_f32_e32 v59, v65, v59
	v_mul_f32_e32 v65, 0x3f4c4adb, v64
	v_add_f32_e32 v60, v66, v60
	v_fma_f32 v66, v9, s13, -v65
	v_fmac_f32_e32 v65, 0xbf1a4643, v9
	v_mul_f32_e32 v64, 0x3f2c7751, v64
	v_add_f32_e32 v61, v65, v61
	v_fma_f32 v65, v9, s7, -v64
	v_fmac_f32_e32 v64, 0x3f3d2fb0, v9
	v_add_f32_e32 v8, v64, v8
	v_sub_f32_e32 v64, v34, v42
	v_add_f32_e32 v63, v65, v63
	v_add_f32_e32 v9, v32, v41
	v_mul_f32_e32 v65, 0xbf763a35, v64
	v_add_f32_e32 v62, v66, v62
	v_fma_f32 v66, v9, s12, -v65
	v_fmac_f32_e32 v65, 0xbe8c1d8e, v9
	v_add_f32_e32 v11, v65, v11
	v_mul_f32_e32 v65, 0x3f06c442, v64
	v_add_f32_e32 v12, v66, v12
	v_fma_f32 v66, v9, s16, -v65
	v_fmac_f32_e32 v65, 0xbf59a7d5, v9
	v_add_f32_e32 v13, v65, v13
	v_mul_f32_e32 v65, 0x3f2c7751, v64
	v_add_f32_e32 v14, v66, v14
	v_fma_f32 v66, v9, s7, -v65
	v_fmac_f32_e32 v65, 0x3f3d2fb0, v9
	v_add_f32_e32 v15, v65, v15
	v_mul_f32_e32 v65, 0xbf65296c, v64
	v_add_f32_e32 v16, v66, v16
	v_fma_f32 v66, v9, s10, -v65
	v_fmac_f32_e32 v65, 0x3ee437d1, v9
	v_add_f32_e32 v17, v65, v17
	v_mul_f32_e32 v65, 0xbe3c28d5, v64
	v_add_f32_e32 v18, v66, v18
	v_fma_f32 v66, v9, s17, -v65
	v_fmac_f32_e32 v65, 0xbf7ba420, v9
	v_add_f32_e32 v20, v65, v20
	v_mul_f32_e32 v65, 0x3f7ee86f, v64
	v_add_f32_e32 v36, v66, v36
	v_fma_f32 v66, v9, s11, -v65
	v_fmac_f32_e32 v65, 0x3dbcf732, v9
	v_add_f32_e32 v59, v65, v59
	v_mul_f32_e32 v65, 0xbeb8f4ab, v64
	v_add_f32_e32 v60, v66, v60
	v_fma_f32 v66, v9, s6, -v65
	v_fmac_f32_e32 v65, 0x3f6eb680, v9
	v_mul_f32_e32 v64, 0xbf4c4adb, v64
	;; [unrolled: 42-line block ×3, first 2 shown]
	v_add_f32_e32 v61, v65, v61
	v_fma_f32 v65, v9, s10, -v64
	v_fmac_f32_e32 v64, 0x3ee437d1, v9
	v_add_f32_e32 v8, v64, v8
	v_sub_f32_e32 v64, v27, v29
	v_add_f32_e32 v63, v65, v63
	v_add_f32_e32 v9, v26, v28
	v_mul_f32_e32 v65, 0xbf06c442, v64
	v_add_f32_e32 v62, v66, v62
	v_fma_f32 v66, v9, s16, -v65
	v_fmac_f32_e32 v65, 0xbf59a7d5, v9
	v_add_f32_e32 v11, v65, v11
	v_mul_f32_e32 v65, 0x3f65296c, v64
	v_add_f32_e32 v12, v66, v12
	v_fma_f32 v66, v9, s10, -v65
	v_fmac_f32_e32 v65, 0x3ee437d1, v9
	;; [unrolled: 5-line block ×8, first 2 shown]
	v_sub_f32_e32 v72, v23, v25
	v_add_f32_e32 v70, v20, v8
	v_add_f32_e32 v71, v22, v24
	v_mul_f32_e32 v8, 0xbe3c28d5, v72
	v_fma_f32 v9, v71, s17, -v8
	v_fmac_f32_e32 v8, 0xbf7ba420, v71
	v_add_f32_e32 v64, v36, v63
	v_add_f32_e32 v36, v8, v11
	v_mul_f32_e32 v8, 0x3eb8f4ab, v72
	v_add_f32_e32 v63, v9, v12
	v_fma_f32 v9, v71, s6, -v8
	v_add_f32_e32 v61, v9, v14
	v_mul_f32_e32 v9, 0xbf06c442, v72
	v_fma_f32 v11, v71, s16, -v9
	v_add_f32_e32 v62, v11, v16
	v_mul_f32_e32 v11, 0x3f2c7751, v72
	v_fma_f32 v12, v71, s7, -v11
	v_fmac_f32_e32 v8, 0x3f6eb680, v71
	v_add_f32_e32 v20, v12, v18
	v_mul_f32_e32 v12, 0xbf4c4adb, v72
	v_add_f32_e32 v8, v8, v13
	v_fma_f32 v13, v71, s13, -v12
	v_add_f32_e32 v60, v13, v66
	v_mul_f32_e32 v13, 0x3f65296c, v72
	v_fmac_f32_e32 v11, 0x3f3d2fb0, v71
	v_fma_f32 v14, v71, s10, -v13
	v_fmac_f32_e32 v13, 0x3ee437d1, v71
	v_fmac_f32_e32 v9, 0xbf59a7d5, v71
	v_add_f32_e32 v11, v11, v17
	v_add_f32_e32 v17, v14, v67
	;; [unrolled: 1-line block ×3, first 2 shown]
	v_mul_f32_e32 v14, 0xbf763a35, v72
	v_mov_b32_e32 v59, 0x484
	v_add_f32_e32 v9, v9, v15
	v_fma_f32 v15, v71, s12, -v14
	v_mul_f32_e32 v16, 0x3f7ee86f, v72
	v_cndmask_b32_e64 v59, 0, v59, s[2:3]
	v_fmac_f32_e32 v12, 0xbf1a4643, v71
	v_add_f32_e32 v18, v15, v68
	v_fmac_f32_e32 v14, 0xbe8c1d8e, v71
	v_fma_f32 v15, v71, s11, -v16
	v_fmac_f32_e32 v16, 0x3dbcf732, v71
	v_add_u32_e32 v59, 0, v59
	v_add_f32_e32 v12, v12, v65
	v_add_f32_e32 v14, v14, v69
	;; [unrolled: 1-line block ×4, first 2 shown]
	v_add3_u32 v59, v59, v10, v7
	ds_write2_b32 v59, v19, v63 offset1:17
	ds_write2_b32 v59, v61, v62 offset0:34 offset1:51
	ds_write2_b32 v59, v20, v60 offset0:68 offset1:85
	;; [unrolled: 1-line block ×7, first 2 shown]
	ds_write_b32 v59, v36 offset:1088
	s_waitcnt lgkmcnt(0)
	s_barrier
	ds_read2_b32 v[11:12], v21 offset0:110 offset1:161
	ds_read2_b32 v[7:8], v4 offset0:34 offset1:68
	;; [unrolled: 1-line block ×7, first 2 shown]
	ds_read_b32 v61, v35
	ds_read_b32 v62, v4 offset:2108
                                        ; implicit-def: $vgpr60
	s_and_saveexec_b64 s[2:3], vcc
	s_cbranch_execz .LBB0_14
; %bb.13:
	ds_read_b32 v36, v4 offset:1088
	ds_read_b32 v60, v4 offset:2244
.LBB0_14:
	s_or_b64 exec, exec, s[2:3]
	v_add_f32_e32 v63, v48, v54
	v_add_f32_e32 v63, v63, v50
	v_add_f32_e32 v63, v63, v45
	v_add_f32_e32 v63, v63, v40
	v_add_f32_e32 v63, v63, v34
	v_add_f32_e32 v63, v63, v31
	v_add_f32_e32 v63, v63, v27
	v_add_f32_e32 v63, v63, v23
	v_add_f32_e32 v63, v63, v25
	v_add_f32_e32 v63, v63, v29
	v_add_f32_e32 v63, v63, v38
	v_add_f32_e32 v63, v63, v42
	v_add_f32_e32 v63, v63, v47
	v_add_f32_e32 v63, v63, v52
	v_sub_f32_e32 v53, v53, v57
	v_add_f32_e32 v63, v63, v56
	v_mul_f32_e32 v57, 0xbeb8f4ab, v53
	v_mul_f32_e32 v64, 0xbf2c7751, v53
	;; [unrolled: 1-line block ×8, first 2 shown]
	v_add_f32_e32 v63, v63, v58
	v_add_f32_e32 v54, v54, v58
	v_mov_b32_e32 v58, v57
	v_mov_b32_e32 v65, v64
	;; [unrolled: 1-line block ×8, first 2 shown]
	v_fmac_f32_e32 v58, 0x3f6eb680, v54
	v_fma_f32 v57, v54, s6, -v57
	v_fmac_f32_e32 v65, 0x3f3d2fb0, v54
	v_fma_f32 v64, v54, s7, -v64
	;; [unrolled: 2-line block ×8, first 2 shown]
	v_sub_f32_e32 v49, v49, v55
	v_add_f32_e32 v58, v48, v58
	v_add_f32_e32 v57, v48, v57
	;; [unrolled: 1-line block ×17, first 2 shown]
	v_mul_f32_e32 v53, 0xbf2c7751, v49
	v_mov_b32_e32 v54, v53
	v_fma_f32 v53, v50, s7, -v53
	v_mul_f32_e32 v55, 0xbf7ee86f, v49
	v_fmac_f32_e32 v54, 0x3f3d2fb0, v50
	v_add_f32_e32 v53, v53, v57
	v_mov_b32_e32 v56, v55
	v_fma_f32 v55, v50, s11, -v55
	v_mul_f32_e32 v57, 0xbf4c4adb, v49
	v_add_f32_e32 v54, v54, v58
	v_fmac_f32_e32 v56, 0x3dbcf732, v50
	v_add_f32_e32 v55, v55, v64
	v_mov_b32_e32 v58, v57
	v_fma_f32 v57, v50, s13, -v57
	v_mul_f32_e32 v64, 0xbe3c28d5, v49
	v_add_f32_e32 v56, v56, v65
	;; [unrolled: 6-line block ×4, first 2 shown]
	v_add_f32_e32 v66, v66, v70
	v_mov_b32_e32 v69, v68
	v_fma_f32 v68, v50, s12, -v68
	v_mul_f32_e32 v70, 0x3f65296c, v49
	v_mul_f32_e32 v49, 0x3eb8f4ab, v49
	v_fmac_f32_e32 v67, 0xbf59a7d5, v50
	v_add_f32_e32 v68, v68, v72
	v_mov_b32_e32 v72, v49
	v_fma_f32 v49, v50, s6, -v49
	v_sub_f32_e32 v43, v43, v51
	v_add_f32_e32 v67, v67, v71
	v_mov_b32_e32 v71, v70
	v_add_f32_e32 v48, v49, v48
	v_add_f32_e32 v45, v45, v52
	v_mul_f32_e32 v49, 0xbf65296c, v43
	v_fmac_f32_e32 v69, 0xbe8c1d8e, v50
	v_fmac_f32_e32 v71, 0x3ee437d1, v50
	v_fma_f32 v70, v50, s10, -v70
	v_fmac_f32_e32 v72, 0x3f6eb680, v50
	v_mov_b32_e32 v50, v49
	v_fma_f32 v49, v45, s10, -v49
	v_mul_f32_e32 v51, 0xbf4c4adb, v43
	v_fmac_f32_e32 v50, 0x3ee437d1, v45
	v_add_f32_e32 v49, v49, v53
	v_mov_b32_e32 v52, v51
	v_fma_f32 v51, v45, s13, -v51
	v_mul_f32_e32 v53, 0x3e3c28d5, v43
	v_add_f32_e32 v50, v50, v54
	v_fmac_f32_e32 v52, 0xbf1a4643, v45
	v_add_f32_e32 v51, v51, v55
	v_mov_b32_e32 v54, v53
	v_fma_f32 v53, v45, s17, -v53
	v_mul_f32_e32 v55, 0x3f763a35, v43
	v_add_f32_e32 v52, v52, v56
	v_fmac_f32_e32 v54, 0xbf7ba420, v45
	v_add_f32_e32 v53, v53, v57
	v_mov_b32_e32 v56, v55
	v_fma_f32 v55, v45, s12, -v55
	v_mul_f32_e32 v57, 0x3f2c7751, v43
	v_add_f32_e32 v54, v54, v58
	v_fmac_f32_e32 v56, 0xbe8c1d8e, v45
	v_add_f32_e32 v55, v55, v64
	v_mov_b32_e32 v58, v57
	v_fma_f32 v57, v45, s7, -v57
	v_mul_f32_e32 v64, 0xbeb8f4ab, v43
	v_add_f32_e32 v56, v56, v65
	v_fmac_f32_e32 v58, 0x3f3d2fb0, v45
	v_add_f32_e32 v57, v57, v66
	v_mov_b32_e32 v65, v64
	v_fma_f32 v64, v45, s6, -v64
	v_mul_f32_e32 v66, 0xbf7ee86f, v43
	v_mul_f32_e32 v43, 0xbf06c442, v43
	v_add_f32_e32 v58, v58, v67
	v_add_f32_e32 v64, v64, v68
	v_mov_b32_e32 v67, v66
	v_mov_b32_e32 v68, v43
	v_sub_f32_e32 v39, v39, v46
	v_fmac_f32_e32 v65, 0x3f6eb680, v45
	v_fmac_f32_e32 v67, 0x3dbcf732, v45
	v_fma_f32 v66, v45, s11, -v66
	v_fmac_f32_e32 v68, 0xbf59a7d5, v45
	v_fma_f32 v43, v45, s16, -v43
	v_add_f32_e32 v40, v40, v47
	v_mul_f32_e32 v45, 0xbf7ee86f, v39
	v_mov_b32_e32 v46, v45
	v_fma_f32 v45, v40, s11, -v45
	v_mul_f32_e32 v47, 0xbe3c28d5, v39
	v_add_f32_e32 v43, v43, v48
	v_fmac_f32_e32 v46, 0x3dbcf732, v40
	v_add_f32_e32 v45, v45, v49
	v_mov_b32_e32 v48, v47
	v_fma_f32 v47, v40, s17, -v47
	v_mul_f32_e32 v49, 0x3f763a35, v39
	v_add_f32_e32 v46, v46, v50
	v_fmac_f32_e32 v48, 0xbf7ba420, v40
	v_add_f32_e32 v47, v47, v51
	v_mov_b32_e32 v50, v49
	v_fma_f32 v49, v40, s12, -v49
	v_mul_f32_e32 v51, 0x3eb8f4ab, v39
	v_add_f32_e32 v48, v48, v52
	v_fmac_f32_e32 v50, 0xbe8c1d8e, v40
	v_add_f32_e32 v49, v49, v53
	v_mov_b32_e32 v52, v51
	v_fma_f32 v51, v40, s6, -v51
	v_mul_f32_e32 v53, 0xbf65296c, v39
	v_add_f32_e32 v50, v50, v54
	v_fmac_f32_e32 v52, 0x3f6eb680, v40
	v_add_f32_e32 v51, v51, v55
	v_mov_b32_e32 v54, v53
	v_fma_f32 v53, v40, s10, -v53
	v_mul_f32_e32 v55, 0xbf06c442, v39
	v_add_f32_e32 v52, v52, v56
	v_fmac_f32_e32 v54, 0x3ee437d1, v40
	v_add_f32_e32 v53, v53, v57
	v_mov_b32_e32 v56, v55
	v_fma_f32 v55, v40, s16, -v55
	v_mul_f32_e32 v57, 0x3f4c4adb, v39
	v_mul_f32_e32 v39, 0x3f2c7751, v39
	v_add_f32_e32 v54, v54, v58
	v_add_f32_e32 v55, v55, v64
	v_mov_b32_e32 v58, v57
	v_mov_b32_e32 v64, v39
	v_sub_f32_e32 v32, v32, v41
	v_fmac_f32_e32 v56, 0xbf59a7d5, v40
	v_fmac_f32_e32 v58, 0xbf1a4643, v40
	v_fma_f32 v57, v40, s13, -v57
	v_fmac_f32_e32 v64, 0x3f3d2fb0, v40
	v_fma_f32 v39, v40, s7, -v39
	v_add_f32_e32 v34, v34, v42
	v_mul_f32_e32 v40, 0xbf763a35, v32
	v_mov_b32_e32 v41, v40
	v_fma_f32 v40, v34, s12, -v40
	v_mul_f32_e32 v42, 0x3f06c442, v32
	v_add_f32_e32 v39, v39, v43
	v_fmac_f32_e32 v41, 0xbe8c1d8e, v34
	v_add_f32_e32 v40, v40, v45
	v_mov_b32_e32 v43, v42
	v_fma_f32 v42, v34, s16, -v42
	v_mul_f32_e32 v45, 0x3f2c7751, v32
	v_add_f32_e32 v41, v41, v46
	v_fmac_f32_e32 v43, 0xbf59a7d5, v34
	v_add_f32_e32 v42, v42, v47
	v_mov_b32_e32 v46, v45
	v_fma_f32 v45, v34, s7, -v45
	v_mul_f32_e32 v47, 0xbf65296c, v32
	v_add_f32_e32 v43, v43, v48
	v_fmac_f32_e32 v46, 0x3f3d2fb0, v34
	v_add_f32_e32 v45, v45, v49
	v_mov_b32_e32 v48, v47
	v_fma_f32 v47, v34, s10, -v47
	v_mul_f32_e32 v49, 0xbe3c28d5, v32
	v_add_f32_e32 v46, v46, v50
	v_fmac_f32_e32 v48, 0x3ee437d1, v34
	v_add_f32_e32 v47, v47, v51
	v_mov_b32_e32 v50, v49
	v_fma_f32 v49, v34, s17, -v49
	v_mul_f32_e32 v51, 0x3f7ee86f, v32
	v_add_f32_e32 v48, v48, v52
	v_fmac_f32_e32 v50, 0xbf7ba420, v34
	v_add_f32_e32 v49, v49, v53
	v_mov_b32_e32 v52, v51
	v_fma_f32 v51, v34, s11, -v51
	v_mul_f32_e32 v53, 0xbeb8f4ab, v32
	v_mul_f32_e32 v32, 0xbf4c4adb, v32
	v_add_f32_e32 v50, v50, v54
	v_add_f32_e32 v51, v51, v55
	v_mov_b32_e32 v54, v53
	v_mov_b32_e32 v55, v32
	v_sub_f32_e32 v30, v30, v37
	v_fmac_f32_e32 v52, 0x3dbcf732, v34
	v_fmac_f32_e32 v54, 0x3f6eb680, v34
	v_fma_f32 v53, v34, s6, -v53
	v_fmac_f32_e32 v55, 0xbf1a4643, v34
	v_fma_f32 v32, v34, s13, -v32
	v_add_f32_e32 v31, v31, v38
	v_mul_f32_e32 v34, 0xbf4c4adb, v30
	v_mov_b32_e32 v37, v34
	v_fma_f32 v34, v31, s13, -v34
	v_mul_f32_e32 v38, 0x3f763a35, v30
	v_add_f32_e32 v32, v32, v39
	v_fmac_f32_e32 v37, 0xbf1a4643, v31
	v_add_f32_e32 v34, v34, v40
	v_mov_b32_e32 v39, v38
	v_fma_f32 v38, v31, s12, -v38
	v_mul_f32_e32 v40, 0xbeb8f4ab, v30
	v_add_f32_e32 v37, v37, v41
	v_fmac_f32_e32 v39, 0xbe8c1d8e, v31
	v_add_f32_e32 v38, v38, v42
	v_mov_b32_e32 v41, v40
	v_fma_f32 v40, v31, s6, -v40
	v_mul_f32_e32 v42, 0xbf06c442, v30
	v_add_f32_e32 v39, v39, v43
	v_fmac_f32_e32 v41, 0x3f6eb680, v31
	v_add_f32_e32 v40, v40, v45
	v_mov_b32_e32 v43, v42
	v_fma_f32 v42, v31, s16, -v42
	v_mul_f32_e32 v45, 0x3f7ee86f, v30
	v_sub_f32_e32 v26, v26, v28
	v_add_f32_e32 v41, v41, v46
	v_fmac_f32_e32 v43, 0xbf59a7d5, v31
	v_add_f32_e32 v42, v42, v47
	v_mov_b32_e32 v46, v45
	v_fma_f32 v45, v31, s11, -v45
	v_mul_f32_e32 v47, 0xbf2c7751, v30
	v_add_f32_e32 v27, v27, v29
	v_mul_f32_e32 v28, 0xbf06c442, v26
	v_add_f32_e32 v43, v43, v48
	v_fmac_f32_e32 v46, 0x3dbcf732, v31
	v_add_f32_e32 v45, v45, v49
	v_mov_b32_e32 v48, v47
	v_fma_f32 v47, v31, s7, -v47
	v_mul_f32_e32 v49, 0xbe3c28d5, v30
	v_mul_f32_e32 v30, 0x3f65296c, v30
	v_mov_b32_e32 v29, v28
	v_fma_f32 v28, v27, s16, -v28
	v_add_f32_e32 v46, v46, v50
	v_add_f32_e32 v47, v47, v51
	v_mov_b32_e32 v50, v49
	v_mov_b32_e32 v51, v30
	v_fmac_f32_e32 v29, 0xbf59a7d5, v27
	v_add_f32_e32 v28, v28, v34
	v_mul_f32_e32 v34, 0xbf7ee86f, v26
	v_fmac_f32_e32 v48, 0x3f3d2fb0, v31
	v_fmac_f32_e32 v50, 0xbf7ba420, v31
	v_fma_f32 v49, v31, s17, -v49
	v_fmac_f32_e32 v51, 0x3ee437d1, v31
	v_fma_f32 v30, v31, s10, -v30
	v_add_f32_e32 v29, v29, v37
	v_mul_f32_e32 v31, 0x3f65296c, v26
	v_mov_b32_e32 v37, v34
	v_add_f32_e32 v30, v30, v32
	v_mov_b32_e32 v32, v31
	v_fma_f32 v31, v27, s10, -v31
	v_fmac_f32_e32 v37, 0x3dbcf732, v27
	v_fmac_f32_e32 v32, 0x3ee437d1, v27
	v_add_f32_e32 v31, v31, v38
	v_add_f32_e32 v38, v37, v41
	v_mul_f32_e32 v37, 0x3f4c4adb, v26
	v_add_f32_e32 v32, v32, v39
	v_fma_f32 v34, v27, s11, -v34
	v_mov_b32_e32 v39, v37
	v_fma_f32 v37, v27, s13, -v37
	v_add_f32_e32 v34, v34, v40
	v_add_f32_e32 v40, v37, v42
	v_mul_f32_e32 v37, 0xbeb8f4ab, v26
	v_add_f32_e32 v70, v70, v74
	v_mov_b32_e32 v41, v37
	v_fma_f32 v37, v27, s6, -v37
	v_add_f32_e32 v66, v66, v70
	v_fmac_f32_e32 v39, 0xbf1a4643, v27
	v_add_f32_e32 v42, v37, v45
	v_mul_f32_e32 v37, 0xbe3c28d5, v26
	v_add_f32_e32 v69, v69, v73
	v_add_f32_e32 v72, v72, v76
	;; [unrolled: 1-line block ×4, first 2 shown]
	v_mov_b32_e32 v43, v37
	v_fma_f32 v37, v27, s17, -v37
	v_add_f32_e32 v65, v65, v69
	v_add_f32_e32 v68, v68, v72
	;; [unrolled: 1-line block ×3, first 2 shown]
	v_fmac_f32_e32 v41, 0x3f6eb680, v27
	v_add_f32_e32 v45, v37, v47
	v_mul_f32_e32 v37, 0x3f2c7751, v26
	v_add_f32_e32 v56, v56, v65
	v_add_f32_e32 v64, v64, v68
	;; [unrolled: 1-line block ×4, first 2 shown]
	v_mov_b32_e32 v46, v37
	v_fma_f32 v37, v27, s7, -v37
	v_mul_f32_e32 v26, 0xbf763a35, v26
	v_sub_f32_e32 v22, v22, v24
	v_add_f32_e32 v52, v52, v56
	v_add_f32_e32 v55, v55, v64
	;; [unrolled: 1-line block ×3, first 2 shown]
	v_mov_b32_e32 v37, v26
	v_add_f32_e32 v23, v23, v25
	v_mul_f32_e32 v24, 0xbe3c28d5, v22
	v_add_f32_e32 v48, v48, v52
	v_add_f32_e32 v51, v51, v55
	v_fmac_f32_e32 v43, 0xbf7ba420, v27
	v_fmac_f32_e32 v37, 0xbe8c1d8e, v27
	v_mov_b32_e32 v25, v24
	v_fma_f32 v24, v23, s17, -v24
	v_add_f32_e32 v43, v43, v48
	v_add_f32_e32 v48, v37, v51
	;; [unrolled: 1-line block ×3, first 2 shown]
	v_mul_f32_e32 v24, 0x3eb8f4ab, v22
	v_fmac_f32_e32 v46, 0x3f3d2fb0, v27
	v_fma_f32 v26, v27, s12, -v26
	v_fmac_f32_e32 v25, 0xbf7ba420, v23
	v_mov_b32_e32 v27, v24
	v_mul_f32_e32 v28, 0xbf06c442, v22
	v_add_f32_e32 v71, v71, v75
	v_add_f32_e32 v26, v26, v30
	v_add_f32_e32 v25, v25, v29
	v_fmac_f32_e32 v27, 0x3f6eb680, v23
	v_fma_f32 v24, v23, s6, -v24
	v_mov_b32_e32 v29, v28
	v_mul_f32_e32 v30, 0x3f2c7751, v22
	v_add_f32_e32 v67, v67, v71
	v_add_f32_e32 v27, v27, v32
	v_add_f32_e32 v24, v24, v31
	v_fmac_f32_e32 v29, 0xbf59a7d5, v23
	v_fma_f32 v28, v23, s16, -v28
	;; [unrolled: 7-line block ×4, first 2 shown]
	v_mov_b32_e32 v39, v38
	v_mul_f32_e32 v40, 0xbf763a35, v22
	v_mul_f32_e32 v22, 0x3f7ee86f, v22
	v_add_f32_e32 v50, v50, v54
	v_add_f32_e32 v34, v34, v41
	;; [unrolled: 1-line block ×3, first 2 shown]
	v_fmac_f32_e32 v39, 0x3ee437d1, v23
	v_fma_f32 v38, v23, s10, -v38
	v_mov_b32_e32 v41, v40
	v_mov_b32_e32 v42, v22
	v_fma_f32 v22, v23, s11, -v22
	v_add_f32_e32 v46, v46, v50
	v_add_f32_e32 v39, v39, v43
	;; [unrolled: 1-line block ×3, first 2 shown]
	v_fmac_f32_e32 v41, 0xbe8c1d8e, v23
	v_fma_f32 v40, v23, s12, -v40
	v_fmac_f32_e32 v42, 0x3dbcf732, v23
	v_add_f32_e32 v22, v22, v26
	v_add_f32_e32 v41, v41, v46
	;; [unrolled: 1-line block ×4, first 2 shown]
	s_waitcnt lgkmcnt(0)
	s_barrier
	ds_write2_b32 v59, v63, v25 offset1:17
	ds_write2_b32 v59, v27, v29 offset0:34 offset1:51
	ds_write2_b32 v59, v31, v34 offset0:68 offset1:85
	;; [unrolled: 1-line block ×7, first 2 shown]
	ds_write_b32 v59, v37 offset:1088
	s_waitcnt lgkmcnt(0)
	s_barrier
	ds_read2_b32 v[25:26], v21 offset0:110 offset1:161
	ds_read2_b32 v[21:22], v4 offset0:34 offset1:68
	;; [unrolled: 1-line block ×7, first 2 shown]
	ds_read_b32 v38, v35
	ds_read_b32 v39, v4 offset:2108
                                        ; implicit-def: $vgpr35
	s_and_saveexec_b64 s[2:3], vcc
	s_cbranch_execz .LBB0_16
; %bb.15:
	ds_read_b32 v37, v4 offset:1088
	ds_read_b32 v35, v4 offset:2244
	v_add_u32_e32 v0, 0x110, v3
.LBB0_16:
	s_or_b64 exec, exec, s[2:3]
	s_and_saveexec_b64 s[2:3], s[0:1]
	s_cbranch_execz .LBB0_19
; %bb.17:
	v_mov_b32_e32 v4, 0
	v_lshlrev_b64 v[40:41], 3, v[3:4]
	v_mov_b32_e32 v3, s9
	v_add_co_u32_e32 v40, vcc, s8, v40
	v_addc_co_u32_e32 v41, vcc, v3, v41, vcc
	global_load_dwordx2 v[42:43], v[40:41], off offset:4080
	global_load_dwordx2 v[45:46], v[40:41], off offset:3808
	;; [unrolled: 1-line block ×8, first 2 shown]
	v_mul_lo_u32 v3, s5, v5
	v_mul_lo_u32 v40, s4, v6
	v_mad_u64_u32 v[5:6], s[0:1], s4, v5, 0
	s_mov_b32 s1, 0xe2c4a689
	v_mul_hi_u32 v41, v44, s1
	v_add3_u32 v6, v6, v40, v3
	v_lshlrev_b64 v[5:6], 3, v[5:6]
	s_movk_i32 s2, 0x242
	v_lshrrev_b32_e32 v3, 8, v41
	v_mul_u32_u24_e32 v3, 0x121, v3
	v_add_co_u32_e32 v5, vcc, s14, v5
	s_movk_i32 s0, 0x121
	s_waitcnt vmcnt(7)
	v_mul_f32_e32 v40, v62, v43
	s_waitcnt lgkmcnt(0)
	v_mul_f32_e32 v41, v39, v43
	s_waitcnt vmcnt(6)
	v_mul_f32_e32 v43, v20, v46
	v_mul_f32_e32 v46, v34, v46
	s_waitcnt vmcnt(5)
	v_mul_f32_e32 v59, v19, v48
	s_waitcnt vmcnt(4)
	v_mul_f32_e32 v63, v18, v50
	v_mul_f32_e32 v50, v32, v50
	s_waitcnt vmcnt(3)
	;; [unrolled: 5-line block ×3, first 2 shown]
	v_mul_f32_e32 v66, v15, v56
	v_mul_f32_e32 v48, v33, v48
	;; [unrolled: 1-line block ×4, first 2 shown]
	s_waitcnt vmcnt(0)
	v_mul_f32_e32 v67, v12, v58
	v_mul_f32_e32 v58, v26, v58
	v_fmac_f32_e32 v40, v39, v42
	v_fma_f32 v20, v20, v45, -v46
	v_fmac_f32_e32 v59, v33, v47
	v_fmac_f32_e32 v63, v32, v49
	v_fma_f32 v32, v18, v49, -v50
	v_fmac_f32_e32 v64, v31, v51
	;; [unrolled: 3-line block ×3, first 2 shown]
	v_fma_f32 v39, v62, v42, -v41
	v_fmac_f32_e32 v43, v34, v45
	v_fma_f32 v31, v17, v51, -v52
	v_fma_f32 v41, v15, v55, -v56
	;; [unrolled: 1-line block ×3, first 2 shown]
	v_sub_f32_e32 v16, v25, v40
	v_sub_f32_e32 v17, v14, v20
	;; [unrolled: 1-line block ×11, first 2 shown]
	v_fma_f32 v12, v25, 2.0, -v16
	v_fma_f32 v25, v14, 2.0, -v17
	;; [unrolled: 1-line block ×8, first 2 shown]
	v_sub_u32_e32 v21, v44, v3
	v_mov_b32_e32 v3, s15
	v_addc_co_u32_e32 v6, vcc, v3, v6, vcc
	v_lshlrev_b64 v[2:3], 3, v[1:2]
	v_lshlrev_b32_e32 v1, 3, v21
	v_add_co_u32_e32 v2, vcc, v5, v2
	v_addc_co_u32_e32 v5, vcc, v6, v3, vcc
	v_add_u32_e32 v3, 34, v44
	v_mul_hi_u32 v6, v3, s1
	v_fma_f32 v19, v19, v47, -v48
	v_add_co_u32_e32 v47, vcc, v2, v1
	v_lshrrev_b32_e32 v1, 8, v6
	v_fmac_f32_e32 v67, v26, v57
	v_mul_u32_u24_e32 v6, 0x121, v1
	v_sub_f32_e32 v42, v38, v67
	v_sub_u32_e32 v3, v3, v6
	v_fma_f32 v46, v38, 2.0, -v42
	v_fma_f32 v45, v61, 2.0, -v41
	v_addc_co_u32_e32 v48, vcc, 0, v5, vcc
	v_mad_u32_u24 v3, v1, s2, v3
	global_store_dwordx2 v[47:48], v[45:46], off
	global_store_dwordx2 v[47:48], v[41:42], off offset:2312
	v_lshlrev_b64 v[41:42], 3, v[3:4]
	v_fma_f32 v7, v7, 2.0, -v39
	v_add_co_u32_e32 v41, vcc, v2, v41
	v_addc_co_u32_e32 v42, vcc, v5, v42, vcc
	v_add_u32_e32 v3, 0x121, v3
	v_add_u32_e32 v1, 0x44, v44
	global_store_dwordx2 v[41:42], v[7:8], off
	v_lshlrev_b64 v[6:7], 3, v[3:4]
	v_mul_hi_u32 v3, v1, s1
	v_add_co_u32_e32 v6, vcc, v2, v6
	v_addc_co_u32_e32 v7, vcc, v5, v7, vcc
	v_lshrrev_b32_e32 v3, 8, v3
	global_store_dwordx2 v[6:7], v[39:40], off
	v_mul_u32_u24_e32 v6, 0x121, v3
	v_sub_u32_e32 v1, v1, v6
	v_mad_u32_u24 v3, v3, s2, v1
	v_lshlrev_b64 v[6:7], 3, v[3:4]
	v_add_u32_e32 v3, 0x121, v3
	v_add_co_u32_e32 v6, vcc, v2, v6
	v_addc_co_u32_e32 v7, vcc, v5, v7, vcc
	v_add_u32_e32 v1, 0x66, v44
	global_store_dwordx2 v[6:7], v[22:23], off
	v_lshlrev_b64 v[6:7], 3, v[3:4]
	v_mul_hi_u32 v3, v1, s1
	v_add_co_u32_e32 v6, vcc, v2, v6
	v_addc_co_u32_e32 v7, vcc, v5, v7, vcc
	v_lshrrev_b32_e32 v3, 8, v3
	global_store_dwordx2 v[6:7], v[33:34], off
	v_mul_u32_u24_e32 v6, 0x121, v3
	v_sub_u32_e32 v1, v1, v6
	v_mad_u32_u24 v3, v3, s2, v1
	v_lshlrev_b64 v[6:7], 3, v[3:4]
	v_sub_f32_e32 v31, v9, v31
	v_add_co_u32_e32 v6, vcc, v2, v6
	v_fma_f32 v9, v9, 2.0, -v31
	v_addc_co_u32_e32 v7, vcc, v5, v7, vcc
	v_add_u32_e32 v3, 0x121, v3
	v_add_u32_e32 v1, 0x88, v44
	global_store_dwordx2 v[6:7], v[9:10], off
	v_lshlrev_b64 v[6:7], 3, v[3:4]
	v_mul_hi_u32 v3, v1, s1
	v_add_co_u32_e32 v6, vcc, v2, v6
	v_addc_co_u32_e32 v7, vcc, v5, v7, vcc
	v_lshrrev_b32_e32 v3, 8, v3
	global_store_dwordx2 v[6:7], v[31:32], off
	v_mul_u32_u24_e32 v6, 0x121, v3
	v_sub_u32_e32 v1, v1, v6
	v_mad_u32_u24 v3, v3, s2, v1
	v_lshlrev_b64 v[6:7], 3, v[3:4]
	v_sub_f32_e32 v18, v28, v43
	v_sub_f32_e32 v30, v24, v63
	v_add_co_u32_e32 v6, vcc, v2, v6
	v_fma_f32 v26, v28, 2.0, -v18
	v_fma_f32 v28, v24, 2.0, -v30
	v_addc_co_u32_e32 v7, vcc, v5, v7, vcc
	v_add_u32_e32 v3, 0x121, v3
	v_add_u32_e32 v1, 0xaa, v44
	global_store_dwordx2 v[6:7], v[27:28], off
	v_lshlrev_b64 v[6:7], 3, v[3:4]
	v_mul_hi_u32 v3, v1, s1
	v_add_co_u32_e32 v6, vcc, v2, v6
	v_addc_co_u32_e32 v7, vcc, v5, v7, vcc
	v_lshrrev_b32_e32 v3, 8, v3
	global_store_dwordx2 v[6:7], v[29:30], off
	v_mul_u32_u24_e32 v6, 0x121, v3
	v_sub_u32_e32 v1, v1, v6
	v_mad_u32_u24 v3, v3, s2, v1
	v_lshlrev_b64 v[6:7], 3, v[3:4]
	v_sub_f32_e32 v19, v13, v19
	v_add_co_u32_e32 v6, vcc, v2, v6
	v_fma_f32 v13, v13, 2.0, -v19
	v_addc_co_u32_e32 v7, vcc, v5, v7, vcc
	v_add_u32_e32 v3, 0x121, v3
	v_add_u32_e32 v1, 0xcc, v44
	global_store_dwordx2 v[6:7], v[13:14], off
	v_lshlrev_b64 v[6:7], 3, v[3:4]
	v_mul_hi_u32 v3, v1, s1
	v_add_co_u32_e32 v6, vcc, v2, v6
	v_addc_co_u32_e32 v7, vcc, v5, v7, vcc
	v_lshrrev_b32_e32 v3, 8, v3
	global_store_dwordx2 v[6:7], v[19:20], off
	v_mul_u32_u24_e32 v6, 0x121, v3
	v_sub_u32_e32 v1, v1, v6
	v_mad_u32_u24 v3, v3, s2, v1
	v_lshlrev_b64 v[6:7], 3, v[3:4]
	v_add_u32_e32 v3, 0x121, v3
	v_add_co_u32_e32 v6, vcc, v2, v6
	v_addc_co_u32_e32 v7, vcc, v5, v7, vcc
	v_add_u32_e32 v1, 0xee, v44
	global_store_dwordx2 v[6:7], v[25:26], off
	v_lshlrev_b64 v[6:7], 3, v[3:4]
	v_mul_hi_u32 v3, v1, s1
	v_add_co_u32_e32 v6, vcc, v2, v6
	v_addc_co_u32_e32 v7, vcc, v5, v7, vcc
	v_lshrrev_b32_e32 v3, 8, v3
	global_store_dwordx2 v[6:7], v[17:18], off
	v_mul_u32_u24_e32 v6, 0x121, v3
	v_sub_u32_e32 v1, v1, v6
	v_mad_u32_u24 v3, v3, s2, v1
	v_lshlrev_b64 v[6:7], 3, v[3:4]
	v_fma_f32 v11, v11, 2.0, -v15
	v_add_co_u32_e32 v6, vcc, v2, v6
	v_addc_co_u32_e32 v7, vcc, v5, v7, vcc
	v_add_u32_e32 v3, 0x121, v3
	global_store_dwordx2 v[6:7], v[11:12], off
	v_lshlrev_b64 v[6:7], 3, v[3:4]
	v_add_u32_e32 v3, 0x110, v44
	v_add_co_u32_e32 v6, vcc, v2, v6
	v_addc_co_u32_e32 v7, vcc, v5, v7, vcc
	v_cmp_gt_u32_e32 vcc, s0, v3
	global_store_dwordx2 v[6:7], v[15:16], off
	s_and_b64 exec, exec, vcc
	s_cbranch_execz .LBB0_19
; %bb.18:
	v_mov_b32_e32 v1, v4
	v_lshlrev_b64 v[0:1], 3, v[0:1]
	v_mov_b32_e32 v6, s9
	v_add_co_u32_e32 v0, vcc, s8, v0
	v_addc_co_u32_e32 v1, vcc, v6, v1, vcc
	global_load_dwordx2 v[0:1], v[0:1], off offset:2176
	v_lshlrev_b64 v[6:7], 3, v[3:4]
	v_add_u32_e32 v3, 0x231, v44
	v_lshlrev_b64 v[3:4], 3, v[3:4]
	v_add_co_u32_e32 v6, vcc, v2, v6
	v_addc_co_u32_e32 v7, vcc, v5, v7, vcc
	v_add_co_u32_e32 v2, vcc, v2, v3
	v_addc_co_u32_e32 v3, vcc, v5, v4, vcc
	s_waitcnt vmcnt(0)
	v_mul_f32_e32 v4, v35, v1
	v_mul_f32_e32 v1, v60, v1
	v_fma_f32 v4, v60, v0, -v4
	v_fmac_f32_e32 v1, v35, v0
	v_sub_f32_e32 v0, v36, v4
	v_sub_f32_e32 v1, v37, v1
	v_fma_f32 v4, v36, 2.0, -v0
	v_fma_f32 v5, v37, 2.0, -v1
	global_store_dwordx2 v[6:7], v[4:5], off
	global_store_dwordx2 v[2:3], v[0:1], off
.LBB0_19:
	s_endpgm
	.section	.rodata,"a",@progbits
	.p2align	6, 0x0
	.amdhsa_kernel fft_rtc_fwd_len578_factors_17_17_2_wgs_238_tpt_34_halfLds_sp_op_CI_CI_unitstride_sbrr_dirReg
		.amdhsa_group_segment_fixed_size 0
		.amdhsa_private_segment_fixed_size 0
		.amdhsa_kernarg_size 104
		.amdhsa_user_sgpr_count 6
		.amdhsa_user_sgpr_private_segment_buffer 1
		.amdhsa_user_sgpr_dispatch_ptr 0
		.amdhsa_user_sgpr_queue_ptr 0
		.amdhsa_user_sgpr_kernarg_segment_ptr 1
		.amdhsa_user_sgpr_dispatch_id 0
		.amdhsa_user_sgpr_flat_scratch_init 0
		.amdhsa_user_sgpr_private_segment_size 0
		.amdhsa_uses_dynamic_stack 0
		.amdhsa_system_sgpr_private_segment_wavefront_offset 0
		.amdhsa_system_sgpr_workgroup_id_x 1
		.amdhsa_system_sgpr_workgroup_id_y 0
		.amdhsa_system_sgpr_workgroup_id_z 0
		.amdhsa_system_sgpr_workgroup_info 0
		.amdhsa_system_vgpr_workitem_id 0
		.amdhsa_next_free_vgpr 90
		.amdhsa_next_free_sgpr 28
		.amdhsa_reserve_vcc 1
		.amdhsa_reserve_flat_scratch 0
		.amdhsa_float_round_mode_32 0
		.amdhsa_float_round_mode_16_64 0
		.amdhsa_float_denorm_mode_32 3
		.amdhsa_float_denorm_mode_16_64 3
		.amdhsa_dx10_clamp 1
		.amdhsa_ieee_mode 1
		.amdhsa_fp16_overflow 0
		.amdhsa_exception_fp_ieee_invalid_op 0
		.amdhsa_exception_fp_denorm_src 0
		.amdhsa_exception_fp_ieee_div_zero 0
		.amdhsa_exception_fp_ieee_overflow 0
		.amdhsa_exception_fp_ieee_underflow 0
		.amdhsa_exception_fp_ieee_inexact 0
		.amdhsa_exception_int_div_zero 0
	.end_amdhsa_kernel
	.text
.Lfunc_end0:
	.size	fft_rtc_fwd_len578_factors_17_17_2_wgs_238_tpt_34_halfLds_sp_op_CI_CI_unitstride_sbrr_dirReg, .Lfunc_end0-fft_rtc_fwd_len578_factors_17_17_2_wgs_238_tpt_34_halfLds_sp_op_CI_CI_unitstride_sbrr_dirReg
                                        ; -- End function
	.section	.AMDGPU.csdata,"",@progbits
; Kernel info:
; codeLenInByte = 13804
; NumSgprs: 32
; NumVgprs: 90
; ScratchSize: 0
; MemoryBound: 0
; FloatMode: 240
; IeeeMode: 1
; LDSByteSize: 0 bytes/workgroup (compile time only)
; SGPRBlocks: 3
; VGPRBlocks: 22
; NumSGPRsForWavesPerEU: 32
; NumVGPRsForWavesPerEU: 90
; Occupancy: 2
; WaveLimiterHint : 1
; COMPUTE_PGM_RSRC2:SCRATCH_EN: 0
; COMPUTE_PGM_RSRC2:USER_SGPR: 6
; COMPUTE_PGM_RSRC2:TRAP_HANDLER: 0
; COMPUTE_PGM_RSRC2:TGID_X_EN: 1
; COMPUTE_PGM_RSRC2:TGID_Y_EN: 0
; COMPUTE_PGM_RSRC2:TGID_Z_EN: 0
; COMPUTE_PGM_RSRC2:TIDIG_COMP_CNT: 0
	.type	__hip_cuid_b96fb88e099585a4,@object ; @__hip_cuid_b96fb88e099585a4
	.section	.bss,"aw",@nobits
	.globl	__hip_cuid_b96fb88e099585a4
__hip_cuid_b96fb88e099585a4:
	.byte	0                               ; 0x0
	.size	__hip_cuid_b96fb88e099585a4, 1

	.ident	"AMD clang version 19.0.0git (https://github.com/RadeonOpenCompute/llvm-project roc-6.4.0 25133 c7fe45cf4b819c5991fe208aaa96edf142730f1d)"
	.section	".note.GNU-stack","",@progbits
	.addrsig
	.addrsig_sym __hip_cuid_b96fb88e099585a4
	.amdgpu_metadata
---
amdhsa.kernels:
  - .args:
      - .actual_access:  read_only
        .address_space:  global
        .offset:         0
        .size:           8
        .value_kind:     global_buffer
      - .offset:         8
        .size:           8
        .value_kind:     by_value
      - .actual_access:  read_only
        .address_space:  global
        .offset:         16
        .size:           8
        .value_kind:     global_buffer
      - .actual_access:  read_only
        .address_space:  global
        .offset:         24
        .size:           8
        .value_kind:     global_buffer
      - .actual_access:  read_only
        .address_space:  global
        .offset:         32
        .size:           8
        .value_kind:     global_buffer
      - .offset:         40
        .size:           8
        .value_kind:     by_value
      - .actual_access:  read_only
        .address_space:  global
        .offset:         48
        .size:           8
        .value_kind:     global_buffer
      - .actual_access:  read_only
        .address_space:  global
        .offset:         56
        .size:           8
        .value_kind:     global_buffer
      - .offset:         64
        .size:           4
        .value_kind:     by_value
      - .actual_access:  read_only
        .address_space:  global
        .offset:         72
        .size:           8
        .value_kind:     global_buffer
      - .actual_access:  read_only
        .address_space:  global
        .offset:         80
        .size:           8
        .value_kind:     global_buffer
      - .actual_access:  read_only
        .address_space:  global
        .offset:         88
        .size:           8
        .value_kind:     global_buffer
      - .actual_access:  write_only
        .address_space:  global
        .offset:         96
        .size:           8
        .value_kind:     global_buffer
    .group_segment_fixed_size: 0
    .kernarg_segment_align: 8
    .kernarg_segment_size: 104
    .language:       OpenCL C
    .language_version:
      - 2
      - 0
    .max_flat_workgroup_size: 238
    .name:           fft_rtc_fwd_len578_factors_17_17_2_wgs_238_tpt_34_halfLds_sp_op_CI_CI_unitstride_sbrr_dirReg
    .private_segment_fixed_size: 0
    .sgpr_count:     32
    .sgpr_spill_count: 0
    .symbol:         fft_rtc_fwd_len578_factors_17_17_2_wgs_238_tpt_34_halfLds_sp_op_CI_CI_unitstride_sbrr_dirReg.kd
    .uniform_work_group_size: 1
    .uses_dynamic_stack: false
    .vgpr_count:     90
    .vgpr_spill_count: 0
    .wavefront_size: 64
amdhsa.target:   amdgcn-amd-amdhsa--gfx906
amdhsa.version:
  - 1
  - 2
...

	.end_amdgpu_metadata
